;; amdgpu-corpus repo=ROCm/rccl kind=compiled arch=gfx1250 opt=O3
	.amdgcn_target "amdgcn-amd-amdhsa--gfx1250"
	.amdhsa_code_object_version 6
	.text
	.p2align	2                               ; -- Begin function _ZN12_GLOBAL__N_17runRingIa7FuncSumIaE7ProtoLLLi0ELi1ELi0EEEviiP15ncclDevWorkColl
	.type	_ZN12_GLOBAL__N_17runRingIa7FuncSumIaE7ProtoLLLi0ELi1ELi0EEEviiP15ncclDevWorkColl,@function
_ZN12_GLOBAL__N_17runRingIa7FuncSumIaE7ProtoLLLi0ELi1ELi0EEEviiP15ncclDevWorkColl: ; @_ZN12_GLOBAL__N_17runRingIa7FuncSumIaE7ProtoLLLi0ELi1ELi0EEEviiP15ncclDevWorkColl
; %bb.0:
	s_wait_loadcnt_dscnt 0x0
	s_wait_kmcnt 0x0
	s_trap 2
	ds_load_b64 v[4:5], v0
	s_clause 0x1
	flat_load_b64 v[16:17], v[2:3]
	flat_load_u16 v9, v[2:3] offset:8
	ds_load_b32 v6, v0
	s_mov_b32 s0, exec_lo
                                        ; implicit-def: $vgpr48_vgpr49
                                        ; implicit-def: $vgpr14_vgpr15
	s_wait_dscnt 0x3
	flat_load_b64 v[50:51], v[4:5]
                                        ; implicit-def: $vgpr4_vgpr5
	s_wait_loadcnt_dscnt 0x203
	v_and_b32_e32 v7, 0xff, v16
	v_mov_b32_e32 v8, v17
	s_wait_dscnt 0x1
	s_wait_xcnt 0x0
	s_delay_alu instid0(VALU_DEP_2)
	v_cmpx_ne_u32_e64 v6, v7
	s_xor_b32 s0, exec_lo, s0
	s_cbranch_execz .LBB0_6
; %bb.1:
	v_bfe_u32 v11, v16, 8, 8
	v_not_b32_e32 v10, v7
	s_mov_b32 s1, exec_lo
                                        ; implicit-def: $vgpr48_vgpr49
                                        ; implicit-def: $vgpr4_vgpr5
                                        ; implicit-def: $vgpr14_vgpr15
	s_delay_alu instid0(VALU_DEP_2)
	v_cmpx_ne_u32_e64 v6, v11
	s_xor_b32 s1, exec_lo, s1
	s_cbranch_execz .LBB0_3
; %bb.2:
	s_clause 0x1
	flat_load_b128 v[18:21], v[2:3] offset:72
	flat_load_b64 v[4:5], v[2:3] offset:96
	v_add_nc_u32_e32 v6, v6, v10
                                        ; implicit-def: $vgpr11
                                        ; implicit-def: $vgpr10
	s_wait_loadcnt_dscnt 0x101
	s_delay_alu instid0(VALU_DEP_1) | instskip(SKIP_3) | instid1(VALU_DEP_3)
	v_mad_nc_u64_u32 v[14:15], v20, v6, v[18:19]
	s_wait_loadcnt_dscnt 0x0
	v_lshrrev_b64 v[48:49], 21, v[4:5]
	v_mov_b64_e32 v[4:5], v[20:21]
	v_mad_u32 v7, v21, v6, v15
	v_ashrrev_i32_e32 v6, 31, v6
	s_delay_alu instid0(VALU_DEP_1)
	v_mad_u32 v15, v20, v6, v7
.LBB0_3:
	s_wait_xcnt 0x0
	s_and_not1_saveexec_b32 s1, s1
	s_cbranch_execz .LBB0_5
; %bb.4:
	s_clause 0x1
	flat_load_b128 v[18:21], v[2:3] offset:72
	flat_load_b128 v[4:7], v[2:3] offset:88
	s_wait_loadcnt_dscnt 0x0
	v_dual_add_nc_u32 v6, v11, v10 :: v_dual_lshrrev_b32 v48, 10, v7
	s_delay_alu instid0(VALU_DEP_1) | instskip(NEXT) | instid1(VALU_DEP_1)
	v_mad_nc_u64_u32 v[14:15], v20, v6, v[18:19]
	v_mad_u32 v10, v21, v6, v15
	v_ashrrev_i32_e32 v6, 31, v6
	s_delay_alu instid0(VALU_DEP_1)
	v_mad_u32 v15, v20, v6, v10
.LBB0_5:
	s_wait_xcnt 0x0
	s_or_b32 exec_lo, exec_lo, s1
.LBB0_6:
	s_and_not1_saveexec_b32 s0, s0
	s_cbranch_execz .LBB0_8
; %bb.7:
	s_clause 0x1
	flat_load_b64 v[4:5], v[2:3] offset:72
	flat_load_b64 v[48:49], v[2:3] offset:96
	v_mov_b64_e32 v[14:15], 0
.LBB0_8:
	s_wait_xcnt 0x0
	s_or_b32 exec_lo, exec_lo, s0
	flat_load_b128 v[10:13], v[2:3] offset:16
	s_wait_xcnt 0x0
	v_and_b32_e32 v2, 0x44000000, v16
	v_bfe_u32 v3, v8, 1, 30
	s_mov_b32 s0, exec_lo
	s_delay_alu instid0(VALU_DEP_2) | instskip(NEXT) | instid1(VALU_DEP_1)
	v_cmp_eq_u32_e64 s10, 0x44000000, v2
	v_cndmask_b32_e64 v2, v1, 32, s10
	s_delay_alu instid0(VALU_DEP_1)
	v_cmpx_ge_i32_e64 v0, v2
	s_xor_b32 s1, exec_lo, s0
	s_cbranch_execnz .LBB0_11
; %bb.9:
	s_and_not1_saveexec_b32 s11, s1
	s_cbranch_execnz .LBB0_40
.LBB0_10:
	s_or_b32 exec_lo, exec_lo, s11
	s_wait_loadcnt_dscnt 0x0
	s_set_pc_i64 s[30:31]
.LBB0_11:
	s_wait_loadcnt_dscnt 0x0
	v_cmp_ne_u64_e32 vcc_lo, v[12:13], v[10:11]
	v_cmp_eq_u32_e64 s0, v50, v3
	s_and_b32 s2, vcc_lo, s0
	s_delay_alu instid0(SALU_CYCLE_1)
	s_and_saveexec_b32 s0, s2
	s_cbranch_execz .LBB0_39
; %bb.12:
	v_sub_nc_u32_e32 v27, v0, v2
	s_mov_b32 s3, 0
	s_mov_b32 s2, exec_lo
	s_delay_alu instid0(VALU_DEP_1) | instskip(NEXT) | instid1(VALU_DEP_1)
	v_ashrrev_i16 v0, 15, v27
	v_lshrrev_b16 v0, 11, v0
	s_delay_alu instid0(VALU_DEP_1) | instskip(NEXT) | instid1(VALU_DEP_1)
	v_add_nc_u16 v0, v27, v0
	v_and_b32_e32 v3, 0xffffffe0, v0
	s_delay_alu instid0(VALU_DEP_1) | instskip(NEXT) | instid1(VALU_DEP_1)
	v_sub_nc_u16 v8, v27, v3
	v_cmpx_gt_i16_e32 1, v8
; %bb.13:
	v_dual_add_nc_u32 v3, v12, v14 :: v_dual_add_nc_u32 v6, v10, v14
	s_delay_alu instid0(VALU_DEP_1) | instskip(NEXT) | instid1(VALU_DEP_1)
	v_bitop3_b32 v3, v3, 15, v6 bitop3:0xc8
	v_cmp_ne_u32_e32 vcc_lo, 0, v3
	s_and_b32 s3, vcc_lo, exec_lo
; %bb.14:
	s_or_b32 exec_lo, exec_lo, s2
	v_cndmask_b32_e64 v3, 0, 1, s3
	v_sub_nc_u32_e32 v26, v1, v2
	s_delay_alu instid0(VALU_DEP_2)
	v_cmp_ne_u32_e32 vcc_lo, 0, v3
	s_cbranch_vccz .LBB0_16
; %bb.15:
	v_mov_b64_e32 v[0:1], 0
	s_mov_b32 s3, -1
	s_delay_alu instid0(SALU_CYCLE_1)
	s_and_b32 exec_lo, exec_lo, s3
	s_cbranch_execnz .LBB0_31
	s_branch .LBB0_39
.LBB0_16:
	v_dual_ashrrev_i32 v1, 31, v5 :: v_dual_mov_b32 v3, 0
	v_ashrrev_i16 v6, 5, v0
	v_bfe_i32 v22, v8, 0, 16
	s_mov_b32 s3, 0
	s_delay_alu instid0(VALU_DEP_3) | instskip(SKIP_1) | instid1(VALU_DEP_1)
	v_lshrrev_b32_e32 v2, 22, v1
	s_mov_b32 s2, exec_lo
	v_add_nc_u64_e32 v[0:1], v[4:5], v[2:3]
	v_bfe_i32 v2, v6, 0, 16
	s_delay_alu instid0(VALU_DEP_1) | instskip(NEXT) | instid1(VALU_DEP_3)
	v_ashrrev_i32_e32 v3, 31, v2
	v_ashrrev_i64 v[0:1], 10, v[0:1]
	s_delay_alu instid0(VALU_DEP_1) | instskip(NEXT) | instid1(VALU_DEP_1)
	v_sub_nc_u64_e32 v[6:7], v[0:1], v[2:3]
	v_cmpx_lt_i64_e32 0, v[6:7]
	s_cbranch_execz .LBB0_20
; %bb.17:
	v_ashrrev_i16 v3, 15, v26
	v_lshlrev_b32_e32 v8, 4, v22
	s_delay_alu instid0(VALU_DEP_2) | instskip(NEXT) | instid1(VALU_DEP_2)
	v_lshrrev_b16 v3, 11, v3
	v_lshl_add_u32 v16, v2, 10, v8
	s_delay_alu instid0(VALU_DEP_2) | instskip(NEXT) | instid1(VALU_DEP_2)
	v_add_nc_u16 v3, v26, v3
	v_ashrrev_i32_e32 v17, 31, v16
	s_delay_alu instid0(VALU_DEP_2) | instskip(NEXT) | instid1(VALU_DEP_2)
	v_ashrrev_i16 v3, 5, v3
	v_add_nc_u64_e32 v[16:17], v[14:15], v[16:17]
	s_delay_alu instid0(VALU_DEP_2) | instskip(NEXT) | instid1(VALU_DEP_1)
	v_bfe_i32 v2, v3, 0, 16
	v_dual_lshlrev_b32 v8, 10, v2 :: v_dual_ashrrev_i32 v3, 31, v2
	s_delay_alu instid0(VALU_DEP_1)
	v_ashrrev_i32_e32 v9, 31, v8
.LBB0_18:                               ; =>This Inner Loop Header: Depth=1
	s_delay_alu instid0(VALU_DEP_4) | instskip(NEXT) | instid1(VALU_DEP_3)
	v_add_nc_u64_e32 v[24:25], v[12:13], v[16:17]
	v_sub_nc_u64_e32 v[6:7], v[6:7], v[2:3]
	s_clause 0x1
	global_load_b128 v[18:21], v[24:25], off th:TH_LOAD_NT
	global_load_b128 v[28:31], v[24:25], off offset:512 th:TH_LOAD_NT
	v_cmp_gt_i64_e32 vcc_lo, 1, v[6:7]
	s_wait_xcnt 0x0
	v_add_nc_u64_e32 v[24:25], v[10:11], v[16:17]
	v_add_nc_u64_e32 v[16:17], v[16:17], v[8:9]
	s_wait_loadcnt 0x1
	global_store_b128 v[24:25], v[18:21], off th:TH_STORE_NT
	s_wait_loadcnt 0x0
	global_store_b128 v[24:25], v[28:31], off offset:512 th:TH_STORE_NT
	s_or_b32 s3, vcc_lo, s3
	s_wait_xcnt 0x0
	s_and_not1_b32 exec_lo, exec_lo, s3
	s_cbranch_execnz .LBB0_18
; %bb.19:
	s_or_b32 exec_lo, exec_lo, s3
.LBB0_20:
	s_delay_alu instid0(SALU_CYCLE_1) | instskip(SKIP_4) | instid1(VALU_DEP_2)
	s_or_b32 exec_lo, exec_lo, s2
	v_lshlrev_b64_e32 v[8:9], 10, v[0:1]
	v_mov_b64_e32 v[0:1], 0
	s_mov_b32 s3, 0
	s_mov_b32 s2, exec_lo
                                        ; implicit-def: $vgpr2_vgpr3
                                        ; implicit-def: $vgpr27
	v_cmpx_ne_u64_e64 v[4:5], v[8:9]
	s_cbranch_execz .LBB0_30
; %bb.21:
	v_sub_nc_u64_e32 v[16:17], v[4:5], v[8:9]
	s_mov_b32 s3, exec_lo
	s_delay_alu instid0(VALU_DEP_1) | instskip(NEXT) | instid1(VALU_DEP_1)
	v_dual_mov_b32 v21, 0 :: v_dual_ashrrev_i32 v0, 31, v17
	v_lshrrev_b32_e32 v20, 23, v0
	s_delay_alu instid0(VALU_DEP_1) | instskip(NEXT) | instid1(VALU_DEP_1)
	v_add_nc_u64_e32 v[0:1], v[16:17], v[20:21]
	v_ashrrev_i64 v[18:19], 9, v[0:1]
	v_and_b32_e32 v0, 0xfffffe00, v0
	s_delay_alu instid0(VALU_DEP_1) | instskip(SKIP_1) | instid1(VALU_DEP_2)
	v_sub_nc_u64_e32 v[2:3], v[16:17], v[0:1]
	v_add_nc_u64_e32 v[0:1], v[0:1], v[8:9]
	v_cmpx_lt_i64_e32 15, v[2:3]
; %bb.22:
	v_and_b32_e32 v20, 15, v4
	v_add_nc_u64_e32 v[18:19], 1, v[18:19]
	s_delay_alu instid0(VALU_DEP_2) | instskip(NEXT) | instid1(VALU_DEP_1)
	v_sub_nc_u64_e32 v[2:3], v[2:3], v[20:21]
	v_add_nc_u64_e32 v[0:1], v[2:3], v[0:1]
	v_mov_b64_e32 v[2:3], v[20:21]
; %bb.23:
	s_or_b32 exec_lo, exec_lo, s3
	v_lshlrev_b32_e32 v4, 5, v6
	s_mov_b32 s3, exec_lo
	s_delay_alu instid0(VALU_DEP_1) | instskip(NEXT) | instid1(VALU_DEP_1)
	v_sub_nc_u32_e32 v4, v22, v4
	v_ashrrev_i32_e32 v5, 31, v4
	s_delay_alu instid0(VALU_DEP_1) | instskip(NEXT) | instid1(VALU_DEP_1)
	v_lshrrev_b32_e32 v5, 27, v5
	v_add_nc_u32_e32 v5, v4, v5
	s_delay_alu instid0(VALU_DEP_1) | instskip(NEXT) | instid1(VALU_DEP_1)
	v_and_b32_e32 v6, 0xffffffe0, v5
	v_dual_sub_nc_u32 v22, v4, v6 :: v_dual_ashrrev_i32 v4, 5, v5
	s_delay_alu instid0(VALU_DEP_1) | instskip(NEXT) | instid1(VALU_DEP_1)
	v_lshlrev_b32_e32 v5, 4, v22
	v_lshl_add_u32 v20, v4, 9, v5
	v_ashrrev_i32_e32 v5, 31, v4
	s_delay_alu instid0(VALU_DEP_2) | instskip(NEXT) | instid1(VALU_DEP_2)
	v_ashrrev_i32_e32 v21, 31, v20
	v_sub_nc_u64_e32 v[4:5], v[18:19], v[4:5]
	s_delay_alu instid0(VALU_DEP_2) | instskip(NEXT) | instid1(VALU_DEP_1)
	v_sub_nc_u64_e32 v[6:7], v[16:17], v[20:21]
	v_cmpx_lt_i64_e32 15, v[6:7]
	s_cbranch_execz .LBB0_27
; %bb.24:
	v_ashrrev_i16 v16, 15, v26
	v_add_nc_u64_e32 v[18:19], v[14:15], v[8:9]
	s_mov_b32 s4, 0
	s_delay_alu instid0(VALU_DEP_2) | instskip(NEXT) | instid1(VALU_DEP_2)
	v_lshrrev_b16 v16, 11, v16
	v_add_nc_u64_e32 v[18:19], v[18:19], v[20:21]
	s_delay_alu instid0(VALU_DEP_2) | instskip(NEXT) | instid1(VALU_DEP_1)
	v_add_nc_u16 v16, v26, v16
	v_ashrrev_i16 v16, 5, v16
	s_delay_alu instid0(VALU_DEP_1) | instskip(NEXT) | instid1(VALU_DEP_1)
	v_bfe_i32 v16, v16, 0, 16
	v_dual_lshlrev_b32 v8, 9, v16 :: v_dual_ashrrev_i32 v17, 31, v16
	s_delay_alu instid0(VALU_DEP_1)
	v_ashrrev_i32_e32 v9, 31, v8
.LBB0_25:                               ; =>This Inner Loop Header: Depth=1
	v_add_nc_u64_e32 v[20:21], v[12:13], v[18:19]
	s_delay_alu instid0(VALU_DEP_2) | instskip(NEXT) | instid1(VALU_DEP_4)
	v_sub_nc_u64_e32 v[6:7], v[6:7], v[8:9]
	v_sub_nc_u64_e32 v[4:5], v[4:5], v[16:17]
	global_load_b128 v[28:31], v[20:21], off th:TH_LOAD_NT
	v_cmp_gt_i64_e32 vcc_lo, 16, v[6:7]
	s_wait_xcnt 0x0
	v_add_nc_u64_e32 v[20:21], v[10:11], v[18:19]
	v_add_nc_u64_e32 v[18:19], v[18:19], v[8:9]
	s_or_b32 s4, vcc_lo, s4
	s_wait_loadcnt 0x0
	global_store_b128 v[20:21], v[28:31], off th:TH_STORE_NT
	s_wait_xcnt 0x0
	s_and_not1_b32 exec_lo, exec_lo, s4
	s_cbranch_execnz .LBB0_25
; %bb.26:
	s_or_b32 exec_lo, exec_lo, s4
.LBB0_27:
	s_delay_alu instid0(SALU_CYCLE_1) | instskip(NEXT) | instid1(SALU_CYCLE_1)
	s_or_b32 exec_lo, exec_lo, s3
	s_mov_b32 s3, exec_lo
	s_delay_alu instid0(VALU_DEP_3)
	v_cmpx_lt_i64_e32 0, v[4:5]
	s_cbranch_execz .LBB0_29
; %bb.28:
	v_ashrrev_i16 v6, 15, v26
	s_delay_alu instid0(VALU_DEP_1) | instskip(NEXT) | instid1(VALU_DEP_1)
	v_lshrrev_b16 v6, 11, v6
	v_add_nc_u16 v6, v26, v6
	s_delay_alu instid0(VALU_DEP_1) | instskip(NEXT) | instid1(VALU_DEP_1)
	v_ashrrev_i16 v6, 5, v6
	v_bfe_i32 v6, v6, 0, 16
	s_delay_alu instid0(VALU_DEP_1) | instskip(NEXT) | instid1(VALU_DEP_1)
	v_ashrrev_i32_e32 v7, 31, v6
	v_sub_nc_u64_e32 v[4:5], v[4:5], v[6:7]
.LBB0_29:
	s_or_b32 exec_lo, exec_lo, s3
	s_delay_alu instid0(VALU_DEP_1) | instskip(SKIP_1) | instid1(VALU_DEP_2)
	v_lshlrev_b32_e32 v4, 5, v4
	v_cmp_ne_u64_e32 vcc_lo, 0, v[2:3]
	v_sub_nc_u32_e32 v27, v22, v4
	s_and_b32 s3, vcc_lo, exec_lo
.LBB0_30:
	s_or_b32 exec_lo, exec_lo, s2
	v_mov_b64_e32 v[4:5], v[2:3]
	s_and_b32 exec_lo, exec_lo, s3
	s_cbranch_execz .LBB0_39
.LBB0_31:
	s_delay_alu instid0(VALU_DEP_1) | instskip(SKIP_1) | instid1(VALU_DEP_1)
	v_dual_ashrrev_i32 v2, 31, v27 :: v_dual_ashrrev_i32 v3, 31, v5
	s_mov_b32 s2, exec_lo
	v_dual_lshrrev_b32 v6, 27, v2 :: v_dual_lshrrev_b32 v2, 24, v3
	s_delay_alu instid0(VALU_DEP_1) | instskip(NEXT) | instid1(VALU_DEP_1)
	v_dual_mov_b32 v3, 0 :: v_dual_add_nc_u32 v16, v27, v6
	v_add_nc_u64_e32 v[6:7], v[4:5], v[2:3]
	s_delay_alu instid0(VALU_DEP_2) | instskip(NEXT) | instid1(VALU_DEP_2)
	v_ashrrev_i32_e32 v2, 5, v16
	v_ashrrev_i64 v[8:9], 8, v[6:7]
	s_delay_alu instid0(VALU_DEP_2) | instskip(NEXT) | instid1(VALU_DEP_1)
	v_ashrrev_i32_e32 v3, 31, v2
	v_sub_nc_u64_e32 v[6:7], v[8:9], v[2:3]
	s_delay_alu instid0(VALU_DEP_1)
	v_cmpx_lt_i64_e32 0, v[6:7]
	s_cbranch_execz .LBB0_35
; %bb.32:
	v_ashrrev_i16 v3, 15, v26
	v_and_b32_e32 v16, 0xffffffe0, v16
	v_add_nc_u64_e32 v[24:25], v[14:15], v[0:1]
	s_mov_b32 s3, 0
	s_delay_alu instid0(VALU_DEP_3) | instskip(NEXT) | instid1(VALU_DEP_3)
	v_lshrrev_b16 v3, 11, v3
	v_sub_nc_u32_e32 v17, v27, v16
	s_delay_alu instid0(VALU_DEP_3) | instskip(NEXT) | instid1(VALU_DEP_3)
	v_add_nc_u64_e32 v[22:23], v[24:25], v[12:13]
	v_add_nc_u16 v3, v26, v3
	v_add_nc_u64_e32 v[24:25], v[24:25], v[10:11]
	s_delay_alu instid0(VALU_DEP_2) | instskip(NEXT) | instid1(VALU_DEP_1)
	v_ashrrev_i16 v3, 5, v3
	v_bfe_i32 v16, v3, 0, 16
	s_delay_alu instid0(VALU_DEP_1) | instskip(SKIP_2) | instid1(VALU_DEP_2)
	v_lshlrev_b32_e32 v20, 8, v16
	v_lshl_add_u32 v18, v2, 8, v17
	v_ashrrev_i32_e32 v17, 31, v16
	v_dual_ashrrev_i32 v21, 31, v20 :: v_dual_ashrrev_i32 v19, 31, v18
.LBB0_33:                               ; =>This Inner Loop Header: Depth=1
	s_delay_alu instid0(VALU_DEP_1) | instskip(NEXT) | instid1(VALU_DEP_3)
	v_add_nc_u64_e32 v[28:29], v[18:19], v[22:23]
	v_sub_nc_u64_e32 v[6:7], v[6:7], v[16:17]
	s_delay_alu instid0(VALU_DEP_3)
	v_add_nc_u64_e32 v[22:23], v[22:23], v[20:21]
	s_clause 0x7
	flat_load_u8 v3, v[28:29] th:TH_LOAD_NT
	flat_load_u8 v30, v[28:29] offset:32 th:TH_LOAD_NT
	flat_load_u8 v31, v[28:29] offset:64 th:TH_LOAD_NT
	;; [unrolled: 1-line block ×7, first 2 shown]
	v_cmp_gt_i64_e32 vcc_lo, 1, v[6:7]
	s_wait_xcnt 0x0
	v_add_nc_u64_e32 v[28:29], v[18:19], v[24:25]
	v_add_nc_u64_e32 v[24:25], v[24:25], v[20:21]
	s_wait_loadcnt_dscnt 0x707
	flat_store_b8 v[28:29], v3 th:TH_STORE_NT
	s_wait_loadcnt_dscnt 0x607
	flat_store_b8 v[28:29], v30 offset:32 th:TH_STORE_NT
	s_wait_loadcnt_dscnt 0x507
	flat_store_b8 v[28:29], v31 offset:64 th:TH_STORE_NT
	;; [unrolled: 2-line block ×7, first 2 shown]
	s_or_b32 s3, vcc_lo, s3
	s_wait_xcnt 0x0
	s_and_not1_b32 exec_lo, exec_lo, s3
	s_cbranch_execnz .LBB0_33
; %bb.34:
	s_or_b32 exec_lo, exec_lo, s3
.LBB0_35:
	s_delay_alu instid0(SALU_CYCLE_1) | instskip(SKIP_1) | instid1(VALU_DEP_1)
	s_or_b32 exec_lo, exec_lo, s2
	v_lshlrev_b64_e32 v[8:9], 8, v[8:9]
	v_cmp_ne_u64_e32 vcc_lo, v[4:5], v[8:9]
	s_and_b32 exec_lo, exec_lo, vcc_lo
	s_cbranch_execz .LBB0_39
; %bb.36:
	v_lshlrev_b32_e32 v2, 5, v2
	v_lshlrev_b32_e32 v3, 5, v6
	s_delay_alu instid0(VALU_DEP_2) | instskip(NEXT) | instid1(VALU_DEP_1)
	v_sub_nc_u32_e32 v2, v27, v2
	v_sub_nc_u32_e32 v6, v2, v3
	s_delay_alu instid0(VALU_DEP_1) | instskip(NEXT) | instid1(VALU_DEP_1)
	v_ashrrev_i32_e32 v7, 31, v6
	v_add_nc_u64_e32 v[2:3], v[8:9], v[6:7]
	s_delay_alu instid0(VALU_DEP_1) | instskip(NEXT) | instid1(VALU_DEP_1)
	v_sub_nc_u64_e32 v[2:3], v[4:5], v[2:3]
	v_cmp_lt_i64_e32 vcc_lo, 0, v[2:3]
	s_and_b32 exec_lo, exec_lo, vcc_lo
	s_cbranch_execz .LBB0_39
; %bb.37:
	v_ashrrev_i16 v4, 15, v26
	v_add_nc_u64_e32 v[0:1], v[14:15], v[0:1]
	s_mov_b32 s2, 0
	s_delay_alu instid0(VALU_DEP_2) | instskip(NEXT) | instid1(VALU_DEP_1)
	v_lshrrev_b16 v4, 11, v4
	v_add_nc_u16 v4, v26, v4
	s_delay_alu instid0(VALU_DEP_1) | instskip(NEXT) | instid1(VALU_DEP_1)
	v_ashrrev_i16 v4, 5, v4
	v_bfe_i32 v14, v4, 0, 16
	v_add_nc_u64_e32 v[4:5], v[0:1], v[8:9]
	s_delay_alu instid0(VALU_DEP_2) | instskip(NEXT) | instid1(VALU_DEP_2)
	v_lshlrev_b32_e32 v0, 5, v14
	v_add_nc_u64_e32 v[4:5], v[4:5], v[6:7]
	s_delay_alu instid0(VALU_DEP_2)
	v_ashrrev_i32_e32 v1, 31, v0
.LBB0_38:                               ; =>This Inner Loop Header: Depth=1
	s_delay_alu instid0(VALU_DEP_2) | instskip(NEXT) | instid1(VALU_DEP_2)
	v_add_nc_u64_e32 v[6:7], v[12:13], v[4:5]
	v_sub_nc_u64_e32 v[2:3], v[2:3], v[0:1]
	flat_load_u8 v8, v[6:7] th:TH_LOAD_NT
	v_cmp_gt_i64_e32 vcc_lo, 1, v[2:3]
	s_wait_xcnt 0x0
	v_add_nc_u64_e32 v[6:7], v[10:11], v[4:5]
	v_add_nc_u64_e32 v[4:5], v[4:5], v[0:1]
	s_or_b32 s2, vcc_lo, s2
	s_wait_loadcnt_dscnt 0x0
	flat_store_b8 v[6:7], v8 th:TH_STORE_NT
	s_wait_xcnt 0x0
	s_and_not1_b32 exec_lo, exec_lo, s2
	s_cbranch_execnz .LBB0_38
.LBB0_39:
	s_or_b32 exec_lo, exec_lo, s0
                                        ; implicit-def: $vgpr50_vgpr51
                                        ; implicit-def: $vgpr14_vgpr15
                                        ; implicit-def: $vgpr4_vgpr5
                                        ; implicit-def: $vgpr48_vgpr49
                                        ; implicit-def: $vgpr3
                                        ; implicit-def: $vgpr2
                                        ; implicit-def: $vgpr0
                                        ; implicit-def: $vgpr31
                                        ; implicit-def: $vgpr12_vgpr13
                                        ; implicit-def: $vgpr8_vgpr9
	s_and_not1_saveexec_b32 s11, s1
	s_cbranch_execz .LBB0_10
.LBB0_40:
	s_load_b32 s0, s[8:9], 0x0
	s_bfe_u32 s1, ttmp6, 0x4000c
	s_and_b32 s2, ttmp6, 15
	s_add_co_i32 s1, s1, 1
	s_getreg_b32 s3, hwreg(HW_REG_IB_STS2, 6, 4)
	s_mul_i32 s1, ttmp9, s1
	v_mov_b32_e32 v1, 0
	s_add_co_i32 s2, s2, s1
	s_cmp_eq_u32 s3, 0
	s_mov_b32 s1, 0
	s_cselect_b32 s2, ttmp9, s2
	s_wait_loadcnt 0x2
	v_lshrrev_b64 v[8:9], 31, v[8:9]
	v_mov_b64_e32 v[16:17], 0
	s_delay_alu instid0(VALU_DEP_2) | instskip(SKIP_3) | instid1(VALU_DEP_1)
	v_and_b32_e32 v7, 3, v8
	s_wait_kmcnt 0x0
	s_cmp_lt_u32 s2, s0
	s_cselect_b32 s0, 12, 18
	v_and_b32_e32 v7, 0xffff, v7
	s_add_nc_u64 s[2:3], s[8:9], s[0:1]
	global_load_u16 v30, v1, s[2:3]
	s_wait_xcnt 0x0
	v_ashrrev_i32_e32 v1, 31, v0
	s_trap 2
	ds_load_b32 v18, v0
	v_lshrrev_b32_e32 v6, 27, v1
	s_delay_alu instid0(VALU_DEP_1) | instskip(NEXT) | instid1(VALU_DEP_1)
	v_add_nc_u32_e32 v6, v0, v6
	v_and_b32_e32 v6, 0xffffffe0, v6
	s_delay_alu instid0(VALU_DEP_1) | instskip(SKIP_3) | instid1(VALU_DEP_3)
	v_sub_nc_u32_e32 v6, v0, v6
	s_wait_dscnt 0x0
	v_cmp_gt_i32_e32 vcc_lo, 0, v18
	v_readfirstlane_b32 s3, v18
	v_cmp_eq_u32_e64 s0, 0, v6
	s_cbranch_vccnz .LBB0_42
; %bb.41:
	s_trap 2
	ds_load_b64 v[8:9], v0
	s_mov_b32 s1, 1
	s_wait_dscnt 0x0
	v_readfirstlane_b32 s4, v8
	v_readfirstlane_b32 s5, v9
	flat_load_b64 v[8:9], v18, s[4:5] scale_offset
	s_wait_loadcnt_dscnt 0x0
	v_mad_nc_u64_u32 v[8:9], 0xa8, v7, v[8:9]
	s_clause 0x1
	flat_load_b64 v[20:21], v[8:9] offset:504
	flat_load_b64 v[22:23], v[8:9] offset:608
	s_wait_xcnt 0x2
	v_add_nc_u64_e32 v[18:19], 0x1f8, v[8:9]
	s_wait_xcnt 0x0
	s_delay_alu instid0(VALU_DEP_1)
	v_dual_cndmask_b32 v9, 0, v19, s0 :: v_dual_cndmask_b32 v8, 0, v18, s0
	s_branch .LBB0_43
.LBB0_42:
	v_mov_b64_e32 v[18:19], 0
	v_mov_b64_e32 v[8:9], 0
                                        ; implicit-def: $vgpr22_vgpr23
                                        ; implicit-def: $vgpr20_vgpr21
.LBB0_43:
	s_trap 2
	ds_load_b32 v24, v0
	s_wait_dscnt 0x0
	v_cmp_gt_i32_e32 vcc_lo, 0, v24
	s_cbranch_vccnz .LBB0_45
; %bb.44:
	s_trap 2
	ds_load_b64 v[16:17], v0
	v_cmp_eq_u32_e32 vcc_lo, 0, v6
	s_wait_dscnt 0x0
	v_readfirstlane_b32 s4, v16
	v_readfirstlane_b32 s5, v17
	flat_load_b64 v[16:17], v24, s[4:5] scale_offset
	s_wait_loadcnt_dscnt 0x0
	v_mad_nc_u64_u32 v[16:17], 0xa8, v7, v[16:17]
	s_clause 0x1
	flat_load_b64 v[24:25], v[16:17]
	flat_load_b64 v[26:27], v[16:17] offset:104
	v_dual_cndmask_b32 v37, 0, v17 :: v_dual_cndmask_b32 v36, 0, v16
	s_branch .LBB0_46
.LBB0_45:
	v_mov_b64_e32 v[36:37], 0
                                        ; implicit-def: $vgpr26_vgpr27
                                        ; implicit-def: $vgpr24_vgpr25
.LBB0_46:
	v_subrev_nc_u32_e32 v28, 32, v2
	v_cmp_gt_i32_e32 vcc_lo, s1, v6
	v_mov_b64_e32 v[6:7], 0
	v_mov_b64_e32 v[32:33], 0
	s_delay_alu instid0(VALU_DEP_4)
	v_cmp_ge_i32_e64 s0, v0, v28
                                        ; implicit-def: $vgpr28_vgpr29
	s_and_b32 s12, s0, vcc_lo
	s_wait_xcnt 0x0
	s_and_saveexec_b32 s0, s12
	s_cbranch_execz .LBB0_48
; %bb.47:
	s_clause 0x1
	flat_load_b64 v[32:33], v[8:9] offset:56
	flat_load_b64 v[28:29], v[8:9] offset:104
.LBB0_48:
	s_wait_xcnt 0x0
	s_or_b32 exec_lo, exec_lo, s0
	v_mov_b64_e32 v[34:35], 0
	v_cmp_gt_i32_e64 s0, s1, v0
                                        ; implicit-def: $vgpr52_vgpr53
	s_and_saveexec_b32 s1, s0
	s_cbranch_execz .LBB0_50
; %bb.49:
	flat_load_b64 v[34:35], v[36:37] offset:56
	s_wait_loadcnt_dscnt 0x0
	flat_load_b64 v[52:53], v[34:35] scope:SCOPE_SYS
	s_wait_loadcnt 0x0
	flat_load_b128 v[6:9], v[36:37] offset:96
.LBB0_50:
	s_wait_xcnt 0x0
	s_or_b32 exec_lo, exec_lo, s1
	v_mov_b64_e32 v[36:37], 0
	s_wait_loadcnt 0x0
	v_and_b32_e32 v30, 0xffff, v30
	s_mov_b32 s13, exec_lo
	v_cmpx_ne_u64_e32 0, v[4:5]
	s_cbranch_execnz .LBB0_66
; %bb.51:
	s_or_b32 exec_lo, exec_lo, s13
	s_and_saveexec_b32 s1, s12
	s_cbranch_execnz .LBB0_339
.LBB0_52:
	s_or_b32 exec_lo, exec_lo, s1
	s_and_saveexec_b32 s1, s0
	s_cbranch_execz .LBB0_54
.LBB0_53:
	s_wait_dscnt 0x0
	flat_store_b64 v[16:17], v[8:9] offset:104
.LBB0_54:
	s_wait_xcnt 0x0
	s_or_b32 exec_lo, exec_lo, s1
	s_delay_alu instid0(SALU_CYCLE_1)
	s_mov_b32 s0, exec_lo
	v_cmpx_ne_u32_e32 32, v2
	s_cbranch_execz .LBB0_346
; %bb.55:
	s_mov_b32 s1, exec_lo
	v_cmpx_ne_u32_e64 v2, v30
	s_xor_b32 s1, exec_lo, s1
	s_cbranch_execz .LBB0_344
; %bb.56:
	v_and_b32_e32 v0, 31, v31
	s_mov_b32 s2, exec_lo
	s_delay_alu instid0(VALU_DEP_1)
	v_cmpx_eq_u32_e32 0, v0
	s_cbranch_execz .LBB0_343
; %bb.57:
	s_mov_b32 s4, exec_lo
	s_mov_b32 s3, exec_lo
	v_mbcnt_lo_u32_b32 v0, s4, 0
	global_wb scope:SCOPE_DEV
	s_wait_storecnt 0x0
	s_wait_loadcnt_dscnt 0x0
	global_inv scope:SCOPE_DEV
	v_cmpx_eq_u32_e32 0, v0
	s_cbranch_execz .LBB0_59
; %bb.58:
	s_bcnt1_i32_b32 s4, s4
	s_delay_alu instid0(SALU_CYCLE_1)
	v_dual_mov_b32 v1, 0 :: v_dual_mov_b32 v0, s4
	s_wait_loadcnt 0x0
	ds_add_u64 v0, v[0:1]
	s_trap 2
.LBB0_59:
	s_or_b32 exec_lo, exec_lo, s3
	s_trap 2
	ds_load_b64 v[4:5], v0
	s_wait_dscnt 0x0
	v_dual_mov_b32 v1, 0 :: v_dual_lshrrev_b32 v0, 5, v2
	s_mov_b32 s3, exec_lo
	s_delay_alu instid0(VALU_DEP_1) | instskip(NEXT) | instid1(VALU_DEP_1)
	v_add_nc_u64_e32 v[0:1], v[36:37], v[0:1]
	v_cmpx_lt_u64_e64 v[4:5], v[0:1]
	s_cbranch_execz .LBB0_342
; %bb.60:
	s_mov_b32 s4, 0
	s_mov_b32 s7, 0
                                        ; implicit-def: $sgpr5
                                        ; implicit-def: $sgpr6
	s_branch .LBB0_62
.LBB0_61:                               ;   in Loop: Header=BB0_62 Depth=1
	s_or_b32 exec_lo, exec_lo, s9
	s_delay_alu instid0(SALU_CYCLE_1) | instskip(NEXT) | instid1(SALU_CYCLE_1)
	s_and_b32 s8, exec_lo, s10
	s_or_b32 s4, s8, s4
	s_and_not1_b32 s5, s5, exec_lo
	s_and_b32 s8, s6, exec_lo
	s_delay_alu instid0(SALU_CYCLE_1)
	s_or_b32 s5, s5, s8
	s_and_not1_b32 exec_lo, exec_lo, s4
	s_cbranch_execz .LBB0_340
.LBB0_62:                               ; =>This Inner Loop Header: Depth=1
	s_add_co_i32 s7, s7, 1
	s_delay_alu instid0(SALU_CYCLE_1) | instskip(SKIP_1) | instid1(SALU_CYCLE_1)
	s_cmp_lg_u32 s7, 0x2710
	s_cselect_b32 s8, -1, 0
	s_and_b32 vcc_lo, exec_lo, s8
	s_cbranch_vccz .LBB0_64
; %bb.63:                               ;   in Loop: Header=BB0_62 Depth=1
	s_mov_b32 s10, -1
	s_or_b32 s6, s6, exec_lo
	s_and_saveexec_b32 s9, s8
	s_cbranch_execz .LBB0_61
	s_branch .LBB0_65
.LBB0_64:                               ;   in Loop: Header=BB0_62 Depth=1
	s_trap 2
	ds_load_b64 v[2:3], v0
	s_and_not1_b32 s8, s8, exec_lo
	s_mov_b32 s7, 0
	s_wait_loadcnt_dscnt 0x0
	flat_load_b32 v2, v[2:3] scope:SCOPE_SYS
	s_wait_loadcnt_dscnt 0x0
	global_inv scope:SCOPE_SYS
	v_cmp_eq_u32_e32 vcc_lo, 0, v2
	s_and_b32 s9, vcc_lo, exec_lo
	s_delay_alu instid0(SALU_CYCLE_1)
	s_or_b32 s8, s8, s9
	s_mov_b32 s10, -1
	s_or_b32 s6, s6, exec_lo
	s_and_saveexec_b32 s9, s8
	s_cbranch_execz .LBB0_61
.LBB0_65:                               ;   in Loop: Header=BB0_62 Depth=1
	s_sleep 1
	s_trap 2
	ds_load_b64 v[2:3], v0
	s_wait_dscnt 0x0
	s_and_not1_b32 s6, s6, exec_lo
	v_cmp_ge_u64_e32 vcc_lo, v[2:3], v[0:1]
	s_or_not1_b32 s10, vcc_lo, exec_lo
	s_branch .LBB0_61
.LBB0_66:
	v_cvt_f64_u32_e32 v[36:37], 0
	v_dual_mov_b32 v49, 0 :: v_dual_lshlrev_b32 v38, 4, v48
	v_lshlrev_b32_e32 v54, 3, v0
	v_cmp_ne_u32_e64 s1, v50, v3
	v_cmp_ne_u32_e64 s2, v51, v3
	s_delay_alu instid0(VALU_DEP_4) | instskip(SKIP_3) | instid1(VALU_DEP_3)
	v_and_b32_e32 v38, 0x1fffff0, v38
	v_dual_mov_b32 v39, v49 :: v_dual_bitop2_b32 v3, 31, v31 bitop3:0x40
	v_lshrrev_b32_e32 v66, 5, v2
	s_ashr_i32 s4, s3, 31
	v_cvt_f64_u32_e32 v[64:65], v38
	s_lshr_b32 s4, s4, 29
	v_cmp_eq_u32_e64 s7, 0, v3
	v_dual_mov_b32 v3, v49 :: v_dual_mov_b32 v69, v49
	v_and_b32_e32 v48, 0x1fffff, v48
	s_add_co_i32 s3, s3, s4
	v_cmp_ne_u64_e32 vcc_lo, v[12:13], v[10:11]
	v_mov_b64_e32 v[50:51], 0
	s_ashr_i32 s14, s3, 7
	v_cmp_ne_u64_e64 s3, 0, v[34:35]
	s_wait_dscnt 0x0
	v_cmp_ne_u64_e64 s4, 0, v[6:7]
	v_cmp_ne_u64_e64 s8, 0, v[32:33]
	v_lshlrev_b64_e32 v[82:83], 4, v[2:3]
	v_cmp_ne_u32_e64 s5, 32, v2
	v_cmp_ne_u32_e64 s6, v2, v30
	v_dual_mov_b32 v67, v49 :: v_dual_lshlrev_b32 v68, 3, v2
	v_lshl_add_u64 v[86:87], v[0:1], 4, v[24:25]
	v_mov_b32_e32 v116, 0
	s_xor_b32 s9, s10, -1
	v_ldexp_f64 v[36:37], v[36:37], 32
	s_mov_b32 s10, 0
	s_and_b32 s15, s9, vcc_lo
	v_dual_ashrrev_i32 v55, 31, v54 :: v_dual_mov_b32 v115, 1
	v_lshlrev_b32_e32 v114, 6, v2
	s_delay_alu instid0(VALU_DEP_2) | instskip(NEXT) | instid1(VALU_DEP_4)
	v_add_nc_u64_e32 v[70:71], v[10:11], v[54:55]
	v_add_f64_e32 v[64:65], v[36:37], v[64:65]
	v_add_nc_u64_e32 v[36:37], v[14:15], v[54:55]
	v_lshlrev_b32_e32 v55, 7, v48
	s_delay_alu instid0(VALU_DEP_2) | instskip(SKIP_2) | instid1(VALU_DEP_3)
	v_add_nc_u64_e32 v[80:81], v[36:37], v[12:13]
	v_add_nc_u64_e32 v[84:85], v[10:11], v[36:37]
	v_mov_b64_e32 v[36:37], 0
	v_lshlrev_b32_e32 v3, 3, v80
	s_branch .LBB0_70
.LBB0_67:                               ;   in Loop: Header=BB0_70 Depth=1
	s_or_b32 exec_lo, exec_lo, s9
	v_add_nc_u64_e32 v[26:27], 1, v[26:27]
.LBB0_68:                               ;   in Loop: Header=BB0_70 Depth=1
	s_or_b32 exec_lo, exec_lo, s17
.LBB0_69:                               ;   in Loop: Header=BB0_70 Depth=1
	s_delay_alu instid0(SALU_CYCLE_1) | instskip(SKIP_4) | instid1(VALU_DEP_4)
	s_or_b32 exec_lo, exec_lo, s16
	v_add_nc_u64_e32 v[50:51], v[50:51], v[38:39]
	v_add_nc_u64_e32 v[80:81], v[80:81], v[38:39]
	;; [unrolled: 1-line block ×3, first 2 shown]
	v_add_nc_u32_e32 v3, v3, v55
	v_cmp_ge_u64_e32 vcc_lo, v[50:51], v[4:5]
	s_or_b32 s10, vcc_lo, s10
	s_delay_alu instid0(SALU_CYCLE_1)
	s_and_not1_b32 exec_lo, exec_lo, s10
	s_cbranch_execz .LBB0_338
.LBB0_70:                               ; =>This Loop Header: Depth=1
                                        ;     Child Loop BB0_77 Depth 2
                                        ;     Child Loop BB0_96 Depth 2
	;; [unrolled: 1-line block ×3, first 2 shown]
                                        ;       Child Loop BB0_140 Depth 3
                                        ;     Child Loop BB0_206 Depth 2
                                        ;     Child Loop BB0_113 Depth 2
	;; [unrolled: 1-line block ×3, first 2 shown]
                                        ;       Child Loop BB0_172 Depth 3
                                        ;     Child Loop BB0_218 Depth 2
                                        ;     Child Loop BB0_128 Depth 2
                                        ;     Child Loop BB0_236 Depth 2
                                        ;     Child Loop BB0_264 Depth 2
                                        ;     Child Loop BB0_289 Depth 2
                                        ;     Child Loop BB0_297 Depth 2
                                        ;     Child Loop BB0_316 Depth 2
                                        ;     Child Loop BB0_330 Depth 2
                                        ;     Child Loop BB0_337 Depth 2
	s_wait_loadcnt 0x0
	v_sub_nc_u64_e32 v[10:11], v[4:5], v[50:51]
	s_delay_alu instid0(VALU_DEP_1) | instskip(NEXT) | instid1(VALU_DEP_2)
	v_cvt_f64_u32_e32 v[12:13], v11
	v_cvt_f64_u32_e32 v[10:11], v10
	s_delay_alu instid0(VALU_DEP_2) | instskip(NEXT) | instid1(VALU_DEP_1)
	v_ldexp_f64 v[12:13], v[12:13], 32
	v_add_f64_e32 v[10:11], v[12:13], v[10:11]
	v_max_num_f64_e32 v[12:13], v[64:65], v[64:65]
	s_delay_alu instid0(VALU_DEP_1) | instskip(NEXT) | instid1(VALU_DEP_1)
	v_min_num_f64_e32 v[10:11], v[12:13], v[10:11]
	v_cvt_i32_f64_e32 v1, v[10:11]
	s_delay_alu instid0(VALU_DEP_1) | instskip(SKIP_1) | instid1(SALU_CYCLE_1)
	v_max_i32_e32 v1, 0, v1
	s_and_saveexec_b32 s9, s1
	s_xor_b32 s16, exec_lo, s9
	s_cbranch_execz .LBB0_121
; %bb.71:                               ;   in Loop: Header=BB0_70 Depth=1
	v_add_nc_u64_e32 v[10:11], v[50:51], v[14:15]
	s_and_saveexec_b32 s9, s2
	s_delay_alu instid0(SALU_CYCLE_1)
	s_xor_b32 s17, exec_lo, s9
	s_cbranch_execz .LBB0_115
; %bb.72:                               ;   in Loop: Header=BB0_70 Depth=1
	s_and_saveexec_b32 s18, s3
	s_cbranch_execz .LBB0_88
; %bb.73:                               ;   in Loop: Header=BB0_70 Depth=1
	v_add_nc_u64_e32 v[12:13], 1, v[8:9]
	s_wait_dscnt 0x0
	v_add_nc_u64_e32 v[96:97], 8, v[52:53]
	s_mov_b32 s19, exec_lo
	s_delay_alu instid0(VALU_DEP_1)
	v_cmpx_lt_u64_e64 v[96:97], v[12:13]
	s_cbranch_execz .LBB0_85
; %bb.74:                               ;   in Loop: Header=BB0_70 Depth=1
	s_mov_b32 s20, 0
	s_mov_b32 s24, 0
	v_cmp_eq_u32_e32 vcc_lo, 0, v116
                                        ; implicit-def: $sgpr21
                                        ; implicit-def: $sgpr22
                                        ; implicit-def: $sgpr23
	s_branch .LBB0_77
.LBB0_75:                               ;   in Loop: Header=BB0_77 Depth=2
	s_or_b32 exec_lo, exec_lo, s29
	s_delay_alu instid0(SALU_CYCLE_1)
	s_and_not1_b32 s9, s23, exec_lo
	s_and_b32 s23, s27, exec_lo
	s_and_not1_b32 s22, s22, exec_lo
	s_and_b32 s26, s26, exec_lo
	s_or_b32 s23, s9, s23
	s_or_b32 s22, s22, s26
.LBB0_76:                               ;   in Loop: Header=BB0_77 Depth=2
	s_or_b32 exec_lo, exec_lo, s25
	s_delay_alu instid0(SALU_CYCLE_1) | instskip(NEXT) | instid1(SALU_CYCLE_1)
	s_and_b32 s9, exec_lo, s22
	s_or_b32 s20, s9, s20
	s_and_not1_b32 s9, s21, exec_lo
	s_and_b32 s21, s23, exec_lo
	s_delay_alu instid0(SALU_CYCLE_1)
	s_or_b32 s21, s9, s21
	s_and_not1_b32 exec_lo, exec_lo, s20
	s_cbranch_execz .LBB0_82
.LBB0_77:                               ;   Parent Loop BB0_70 Depth=1
                                        ; =>  This Inner Loop Header: Depth=2
	s_sleep 1
	s_wait_loadcnt_dscnt 0x0
	flat_load_b64 v[52:53], v[34:35] scope:SCOPE_DEV
	v_mov_b32_e32 v116, 1
	s_or_b32 s23, s23, exec_lo
	s_or_b32 s22, s22, exec_lo
                                        ; implicit-def: $vgpr9
	s_wait_xcnt 0x0
	s_and_saveexec_b32 s25, vcc_lo
	s_cbranch_execz .LBB0_76
; %bb.78:                               ;   in Loop: Header=BB0_77 Depth=2
	s_add_co_i32 s24, s24, 1
	s_mov_b32 s26, -1
	s_cmp_lg_u32 s24, 0x2710
	s_mov_b32 s27, -1
	s_cselect_b32 s28, -1, 0
	s_cmp_eq_u32 s24, 0x2710
                                        ; implicit-def: $vgpr9
	s_cbranch_scc1 .LBB0_80
; %bb.79:                               ;   in Loop: Header=BB0_77 Depth=2
	v_mov_b32_e32 v116, 1
	s_and_saveexec_b32 s29, s28
	s_cbranch_execz .LBB0_75
	s_branch .LBB0_81
.LBB0_80:                               ;   in Loop: Header=BB0_77 Depth=2
	s_trap 2
	ds_load_b64 v[96:97], v0
	s_and_not1_b32 s24, s28, exec_lo
	s_mov_b32 s27, 0
	s_wait_storecnt 0x0
	s_wait_loadcnt_dscnt 0x0
	flat_load_b32 v9, v[96:97] scope:SCOPE_SYS
	s_wait_loadcnt_dscnt 0x0
	global_inv scope:SCOPE_SYS
	v_cmp_eq_u32_e64 s9, 0, v9
	s_and_b32 s9, s9, exec_lo
	s_delay_alu instid0(SALU_CYCLE_1)
	s_or_b32 s28, s24, s9
	s_mov_b32 s24, 0
	v_mov_b32_e32 v116, 1
	s_and_saveexec_b32 s29, s28
	s_cbranch_execz .LBB0_75
.LBB0_81:                               ;   in Loop: Header=BB0_77 Depth=2
	s_wait_loadcnt_dscnt 0x0
	v_add_nc_u64_e32 v[96:97], 8, v[52:53]
	v_mov_b32_e32 v116, 0
	s_or_b32 s27, s27, exec_lo
	s_delay_alu instid0(VALU_DEP_2)
	v_cmp_ge_u64_e64 s9, v[96:97], v[12:13]
	s_or_not1_b32 s26, s9, exec_lo
	s_branch .LBB0_75
.LBB0_82:                               ;   in Loop: Header=BB0_70 Depth=1
	s_or_b32 exec_lo, exec_lo, s20
	s_xor_b32 s9, s21, -1
	s_delay_alu instid0(SALU_CYCLE_1) | instskip(NEXT) | instid1(SALU_CYCLE_1)
	s_and_saveexec_b32 s20, s9
	s_xor_b32 s9, exec_lo, s20
	s_cbranch_execz .LBB0_84
; %bb.83:                               ;   in Loop: Header=BB0_70 Depth=1
	v_mov_b32_e32 v116, 1
	s_wait_storecnt 0x0
	s_wait_loadcnt_dscnt 0x0
	ds_store_b32 v0, v9
	s_trap 2
.LBB0_84:                               ;   in Loop: Header=BB0_70 Depth=1
	s_or_b32 exec_lo, exec_lo, s9
.LBB0_85:                               ;   in Loop: Header=BB0_70 Depth=1
	s_delay_alu instid0(SALU_CYCLE_1)
	s_or_b32 exec_lo, exec_lo, s19
	s_and_saveexec_b32 s9, s4
	s_cbranch_execz .LBB0_87
; %bb.86:                               ;   in Loop: Header=BB0_70 Depth=1
	v_add_nc_u32_e32 v9, 7, v1
	s_delay_alu instid0(VALU_DEP_1) | instskip(NEXT) | instid1(VALU_DEP_1)
	v_ashrrev_i32_e32 v48, 31, v9
	v_lshrrev_b32_e32 v48, 29, v48
	s_delay_alu instid0(VALU_DEP_1) | instskip(SKIP_1) | instid1(VALU_DEP_2)
	v_add_nc_u32_e32 v9, v9, v48
	v_and_b32_e32 v48, 0x7ffffff8, v8
	v_dual_lshrrev_b32 v9, 3, v9 :: v_dual_bitop2_b32 v8, 7, v8 bitop3:0x40
	s_delay_alu instid0(VALU_DEP_2) | instskip(NEXT) | instid1(VALU_DEP_2)
	v_cmp_eq_u64_e32 vcc_lo, 0x7ffffff8, v[48:49]
	v_cndmask_b32_e64 v48, v9, s14, vcc_lo
	s_delay_alu instid0(VALU_DEP_3) | instskip(NEXT) | instid1(VALU_DEP_2)
	v_mad_nc_u64_u32 v[8:9], v8, 24, v[6:7]
	v_lshlrev_b32_e32 v96, 4, v48
	s_delay_alu instid0(VALU_DEP_1)
	v_ashrrev_i32_e32 v97, 31, v96
	flat_store_b64 v[8:9], v[96:97] offset:8 scope:SCOPE_SYS
	s_wait_storecnt 0x0
.LBB0_87:                               ;   in Loop: Header=BB0_70 Depth=1
	s_wait_xcnt 0x0
	s_or_b32 exec_lo, exec_lo, s9
	v_mov_b64_e32 v[8:9], v[12:13]
.LBB0_88:                               ;   in Loop: Header=BB0_70 Depth=1
	s_or_b32 exec_lo, exec_lo, s18
	s_and_saveexec_b32 s9, s5
	s_cbranch_execz .LBB0_107
; %bb.89:                               ;   in Loop: Header=BB0_70 Depth=1
	s_and_saveexec_b32 s18, s6
	s_delay_alu instid0(SALU_CYCLE_1)
	s_xor_b32 s18, exec_lo, s18
	s_cbranch_execz .LBB0_104
; %bb.90:                               ;   in Loop: Header=BB0_70 Depth=1
	s_and_saveexec_b32 s19, s7
	s_cbranch_execz .LBB0_103
; %bb.91:                               ;   in Loop: Header=BB0_70 Depth=1
	s_mov_b32 s21, exec_lo
	s_mov_b32 s20, exec_lo
	v_mbcnt_lo_u32_b32 v12, s21, 0
	global_wb scope:SCOPE_DEV
	s_wait_storecnt 0x0
	s_wait_loadcnt_dscnt 0x0
	global_inv scope:SCOPE_DEV
	v_cmpx_eq_u32_e32 0, v12
	s_cbranch_execz .LBB0_93
; %bb.92:                               ;   in Loop: Header=BB0_70 Depth=1
	s_bcnt1_i32_b32 s21, s21
	s_delay_alu instid0(SALU_CYCLE_1)
	v_mov_b32_e32 v48, s21
	s_wait_loadcnt 0x0
	ds_add_u64 v0, v[48:49]
	s_trap 2
.LBB0_93:                               ;   in Loop: Header=BB0_70 Depth=1
	s_or_b32 exec_lo, exec_lo, s20
	s_trap 2
	ds_load_b64 v[12:13], v0
	s_wait_dscnt 0x0
	v_add_nc_u64_e32 v[36:37], v[36:37], v[66:67]
	s_mov_b32 s20, exec_lo
	s_delay_alu instid0(VALU_DEP_1)
	v_cmpx_lt_u64_e64 v[12:13], v[36:37]
	s_cbranch_execz .LBB0_102
; %bb.94:                               ;   in Loop: Header=BB0_70 Depth=1
	s_mov_b32 s21, 0
	s_mov_b32 s24, 0
                                        ; implicit-def: $sgpr22
                                        ; implicit-def: $sgpr23
	s_branch .LBB0_96
.LBB0_95:                               ;   in Loop: Header=BB0_96 Depth=2
	s_or_b32 exec_lo, exec_lo, s26
	s_delay_alu instid0(SALU_CYCLE_1) | instskip(NEXT) | instid1(SALU_CYCLE_1)
	s_and_b32 s25, exec_lo, s27
	s_or_b32 s21, s25, s21
	s_and_not1_b32 s22, s22, exec_lo
	s_and_b32 s25, s23, exec_lo
	s_delay_alu instid0(SALU_CYCLE_1)
	s_or_b32 s22, s22, s25
	s_and_not1_b32 exec_lo, exec_lo, s21
	s_cbranch_execz .LBB0_100
.LBB0_96:                               ;   Parent Loop BB0_70 Depth=1
                                        ; =>  This Inner Loop Header: Depth=2
	s_add_co_i32 s24, s24, 1
	s_delay_alu instid0(SALU_CYCLE_1) | instskip(SKIP_1) | instid1(SALU_CYCLE_1)
	s_cmp_lg_u32 s24, 0x2710
	s_cselect_b32 s25, -1, 0
	s_and_b32 vcc_lo, exec_lo, s25
	s_cbranch_vccz .LBB0_98
; %bb.97:                               ;   in Loop: Header=BB0_96 Depth=2
	s_mov_b32 s27, -1
	s_or_b32 s23, s23, exec_lo
	s_and_saveexec_b32 s26, s25
	s_cbranch_execz .LBB0_95
	s_branch .LBB0_99
.LBB0_98:                               ;   in Loop: Header=BB0_96 Depth=2
	s_trap 2
	ds_load_b64 v[12:13], v0
	s_and_not1_b32 s25, s25, exec_lo
	s_mov_b32 s24, 0
	s_wait_loadcnt_dscnt 0x0
	flat_load_b32 v12, v[12:13] scope:SCOPE_SYS
	s_wait_loadcnt_dscnt 0x0
	global_inv scope:SCOPE_SYS
	v_cmp_eq_u32_e32 vcc_lo, 0, v12
	s_and_b32 s26, vcc_lo, exec_lo
	s_delay_alu instid0(SALU_CYCLE_1)
	s_or_b32 s25, s25, s26
	s_mov_b32 s27, -1
	s_or_b32 s23, s23, exec_lo
	s_and_saveexec_b32 s26, s25
	s_cbranch_execz .LBB0_95
.LBB0_99:                               ;   in Loop: Header=BB0_96 Depth=2
	s_sleep 1
	s_trap 2
	ds_load_b64 v[12:13], v0
	s_wait_dscnt 0x0
	s_and_not1_b32 s23, s23, exec_lo
	v_cmp_ge_u64_e32 vcc_lo, v[12:13], v[36:37]
	s_or_not1_b32 s27, vcc_lo, exec_lo
	s_branch .LBB0_95
.LBB0_100:                              ;   in Loop: Header=BB0_70 Depth=1
	s_or_b32 exec_lo, exec_lo, s21
	s_and_saveexec_b32 s21, s22
	s_delay_alu instid0(SALU_CYCLE_1)
	s_xor_b32 s21, exec_lo, s21
	s_cbranch_execz .LBB0_102
; %bb.101:                              ;   in Loop: Header=BB0_70 Depth=1
	ds_store_b32 v0, v115
	s_trap 2
.LBB0_102:                              ;   in Loop: Header=BB0_70 Depth=1
	s_or_b32 exec_lo, exec_lo, s20
	;;#ASMSTART
	s_wakeup
	;;#ASMEND
.LBB0_103:                              ;   in Loop: Header=BB0_70 Depth=1
	s_or_b32 exec_lo, exec_lo, s19
.LBB0_104:                              ;   in Loop: Header=BB0_70 Depth=1
	s_and_not1_saveexec_b32 s18, s18
	s_cbranch_execz .LBB0_106
; %bb.105:                              ;   in Loop: Header=BB0_70 Depth=1
	global_wb scope:SCOPE_DEV
	s_wait_storecnt 0x0
	s_wait_loadcnt_dscnt 0x0
	global_inv scope:SCOPE_DEV
	s_barrier_signal -1
	s_barrier_wait -1
.LBB0_106:                              ;   in Loop: Header=BB0_70 Depth=1
	s_or_b32 exec_lo, exec_lo, s18
.LBB0_107:                              ;   in Loop: Header=BB0_70 Depth=1
	s_delay_alu instid0(SALU_CYCLE_1) | instskip(SKIP_2) | instid1(VALU_DEP_1)
	s_or_b32 exec_lo, exec_lo, s9
	v_dual_sub_nc_u32 v48, v1, v54 :: v_dual_mov_b32 v96, v0
	s_mov_b32 s18, exec_lo
	v_cmpx_lt_i32_e32 0, v48
	s_cbranch_execnz .LBB0_134
; %bb.108:                              ;   in Loop: Header=BB0_70 Depth=1
	s_or_b32 exec_lo, exec_lo, s18
	s_and_saveexec_b32 s9, s5
	s_cbranch_execnz .LBB0_199
.LBB0_109:                              ;   in Loop: Header=BB0_70 Depth=1
	s_or_b32 exec_lo, exec_lo, s9
	s_and_saveexec_b32 s9, s8
	s_cbranch_execz .LBB0_111
.LBB0_110:                              ;   in Loop: Header=BB0_70 Depth=1
	v_add_nc_u64_e32 v[28:29], 1, v[28:29]
	global_wb scope:SCOPE_SYS
	s_wait_storecnt 0x0
	s_wait_loadcnt_dscnt 0x0
	flat_store_b64 v[32:33], v[28:29] scope:SCOPE_SYS
.LBB0_111:                              ;   in Loop: Header=BB0_70 Depth=1
	s_wait_xcnt 0x0
	s_or_b32 exec_lo, exec_lo, s9
	v_and_b32_e32 v48, 0x7ffffff8, v26
	v_cmp_gt_i32_e64 s9, s14, v96
	s_delay_alu instid0(VALU_DEP_2) | instskip(SKIP_1) | instid1(SALU_CYCLE_1)
	v_cmp_eq_u64_e32 vcc_lo, 0x7ffffff8, v[48:49]
	s_and_b32 s18, vcc_lo, s9
	s_and_saveexec_b32 s9, s18
	s_cbranch_execz .LBB0_114
; %bb.112:                              ;   in Loop: Header=BB0_70 Depth=1
	v_dual_ashrrev_i32 v97, 31, v96 :: v_dual_bitop2_b32 v1, 7, v26 bitop3:0x40
	s_mov_b32 s18, 0
	s_delay_alu instid0(VALU_DEP_1) | instskip(NEXT) | instid1(VALU_DEP_1)
	v_mul_lo_u32 v10, v1, s14
	v_ashrrev_i32_e32 v11, 31, v10
	s_delay_alu instid0(VALU_DEP_1) | instskip(NEXT) | instid1(VALU_DEP_1)
	v_lshlrev_b64_e32 v[10:11], 4, v[10:11]
	v_lshl_add_u64 v[10:11], v[96:97], 4, v[10:11]
	s_delay_alu instid0(VALU_DEP_1)
	v_add_nc_u64_e32 v[98:99], v[24:25], v[10:11]
	v_dual_mov_b32 v10, v49 :: v_dual_add_nc_u32 v11, 1, v26
.LBB0_113:                              ;   Parent Loop BB0_70 Depth=1
                                        ; =>  This Inner Loop Header: Depth=2
	s_delay_alu instid0(VALU_DEP_1) | instskip(NEXT) | instid1(VALU_DEP_2)
	v_dual_mov_b32 v12, v10 :: v_dual_add_nc_u32 v96, v96, v2
	v_mov_b32_e32 v13, v11
	s_delay_alu instid0(VALU_DEP_2) | instskip(SKIP_4) | instid1(SALU_CYCLE_1)
	v_cmp_le_i32_e32 vcc_lo, s14, v96
	global_store_b128 v[98:99], v[10:13], off
	s_wait_xcnt 0x0
	v_add_nc_u64_e32 v[98:99], v[98:99], v[82:83]
	s_or_b32 s18, vcc_lo, s18
	s_and_not1_b32 exec_lo, exec_lo, s18
	s_cbranch_execnz .LBB0_113
.LBB0_114:                              ;   in Loop: Header=BB0_70 Depth=1
	s_or_b32 exec_lo, exec_lo, s9
	v_add_nc_u64_e32 v[22:23], 1, v[22:23]
	v_add_nc_u64_e32 v[26:27], 1, v[26:27]
                                        ; implicit-def: $vgpr1
                                        ; implicit-def: $vgpr10_vgpr11
.LBB0_115:                              ;   in Loop: Header=BB0_70 Depth=1
	s_and_not1_saveexec_b32 s17, s17
	s_cbranch_execz .LBB0_133
; %bb.116:                              ;   in Loop: Header=BB0_70 Depth=1
	v_sub_nc_u32_e32 v1, v1, v54
	s_mov_b32 s18, exec_lo
	s_delay_alu instid0(VALU_DEP_1)
	v_cmpx_lt_i32_e32 0, v1
	s_cbranch_execnz .LBB0_166
; %bb.117:                              ;   in Loop: Header=BB0_70 Depth=1
	s_or_b32 exec_lo, exec_lo, s18
	s_and_saveexec_b32 s9, s5
	s_cbranch_execnz .LBB0_211
.LBB0_118:                              ;   in Loop: Header=BB0_70 Depth=1
	s_or_b32 exec_lo, exec_lo, s9
	s_and_saveexec_b32 s9, s8
	s_cbranch_execz .LBB0_120
.LBB0_119:                              ;   in Loop: Header=BB0_70 Depth=1
	v_add_nc_u64_e32 v[28:29], 1, v[28:29]
	global_wb scope:SCOPE_SYS
	s_wait_storecnt 0x0
	s_wait_loadcnt_dscnt 0x0
	flat_store_b64 v[32:33], v[28:29] scope:SCOPE_SYS
.LBB0_120:                              ;   in Loop: Header=BB0_70 Depth=1
	s_wait_xcnt 0x0
	s_or_b32 exec_lo, exec_lo, s9
	v_add_nc_u64_e32 v[22:23], 1, v[22:23]
	s_or_b32 exec_lo, exec_lo, s17
                                        ; implicit-def: $vgpr1
.LBB0_121:                              ;   in Loop: Header=BB0_70 Depth=1
	s_and_not1_saveexec_b32 s16, s16
	s_cbranch_execz .LBB0_69
.LBB0_122:                              ;   in Loop: Header=BB0_70 Depth=1
	s_wait_loadcnt 0x0
	v_add_nc_u32_e32 v10, 7, v1
	s_delay_alu instid0(VALU_DEP_1) | instskip(NEXT) | instid1(VALU_DEP_1)
	v_ashrrev_i32_e32 v11, 31, v10
	v_lshrrev_b32_e32 v11, 29, v11
	s_delay_alu instid0(VALU_DEP_1) | instskip(NEXT) | instid1(VALU_DEP_1)
	v_add_nc_u32_e32 v10, v10, v11
	v_ashrrev_i32_e32 v12, 3, v10
	s_and_saveexec_b32 s9, s15
	s_delay_alu instid0(SALU_CYCLE_1)
	s_xor_b32 s17, exec_lo, s9
	s_cbranch_execz .LBB0_291
; %bb.123:                              ;   in Loop: Header=BB0_70 Depth=1
	s_and_saveexec_b32 s18, s3
	s_cbranch_execz .LBB0_228
; %bb.124:                              ;   in Loop: Header=BB0_70 Depth=1
	v_add_nc_u64_e32 v[10:11], 1, v[8:9]
	s_wait_dscnt 0x0
	v_add_nc_u64_e32 v[96:97], 8, v[52:53]
	s_mov_b32 s19, exec_lo
	s_delay_alu instid0(VALU_DEP_1)
	v_cmpx_lt_u64_e64 v[96:97], v[10:11]
	s_cbranch_execz .LBB0_225
; %bb.125:                              ;   in Loop: Header=BB0_70 Depth=1
	s_mov_b32 s20, 0
	s_mov_b32 s24, 0
	v_cmp_eq_u32_e32 vcc_lo, 0, v116
                                        ; implicit-def: $sgpr21
                                        ; implicit-def: $sgpr22
                                        ; implicit-def: $sgpr23
	s_branch .LBB0_128
.LBB0_126:                              ;   in Loop: Header=BB0_128 Depth=2
	s_or_b32 exec_lo, exec_lo, s29
	s_delay_alu instid0(SALU_CYCLE_1)
	s_and_not1_b32 s9, s23, exec_lo
	s_and_b32 s23, s27, exec_lo
	s_and_not1_b32 s22, s22, exec_lo
	s_and_b32 s26, s26, exec_lo
	s_or_b32 s23, s9, s23
	s_or_b32 s22, s22, s26
.LBB0_127:                              ;   in Loop: Header=BB0_128 Depth=2
	s_or_b32 exec_lo, exec_lo, s25
	s_delay_alu instid0(SALU_CYCLE_1) | instskip(NEXT) | instid1(SALU_CYCLE_1)
	s_and_b32 s9, exec_lo, s22
	s_or_b32 s20, s9, s20
	s_and_not1_b32 s9, s21, exec_lo
	s_and_b32 s21, s23, exec_lo
	s_delay_alu instid0(SALU_CYCLE_1)
	s_or_b32 s21, s9, s21
	s_and_not1_b32 exec_lo, exec_lo, s20
	s_cbranch_execz .LBB0_222
.LBB0_128:                              ;   Parent Loop BB0_70 Depth=1
                                        ; =>  This Inner Loop Header: Depth=2
	s_sleep 1
	s_wait_loadcnt_dscnt 0x0
	flat_load_b64 v[52:53], v[34:35] scope:SCOPE_DEV
	v_mov_b32_e32 v116, 1
	s_or_b32 s23, s23, exec_lo
	s_or_b32 s22, s22, exec_lo
                                        ; implicit-def: $vgpr9
	s_wait_xcnt 0x0
	s_and_saveexec_b32 s25, vcc_lo
	s_cbranch_execz .LBB0_127
; %bb.129:                              ;   in Loop: Header=BB0_128 Depth=2
	s_add_co_i32 s24, s24, 1
	s_mov_b32 s26, -1
	s_cmp_lg_u32 s24, 0x2710
	s_mov_b32 s27, -1
	s_cselect_b32 s28, -1, 0
	s_cmp_eq_u32 s24, 0x2710
                                        ; implicit-def: $vgpr9
	s_cbranch_scc1 .LBB0_131
; %bb.130:                              ;   in Loop: Header=BB0_128 Depth=2
	v_mov_b32_e32 v116, 1
	s_and_saveexec_b32 s29, s28
	s_cbranch_execz .LBB0_126
	s_branch .LBB0_132
.LBB0_131:                              ;   in Loop: Header=BB0_128 Depth=2
	s_trap 2
	ds_load_b64 v[96:97], v0
	s_and_not1_b32 s24, s28, exec_lo
	s_mov_b32 s27, 0
	s_wait_storecnt 0x0
	s_wait_loadcnt_dscnt 0x0
	flat_load_b32 v9, v[96:97] scope:SCOPE_SYS
	s_wait_loadcnt_dscnt 0x0
	global_inv scope:SCOPE_SYS
	v_cmp_eq_u32_e64 s9, 0, v9
	s_and_b32 s9, s9, exec_lo
	s_delay_alu instid0(SALU_CYCLE_1)
	s_or_b32 s28, s24, s9
	s_mov_b32 s24, 0
	v_mov_b32_e32 v116, 1
	s_and_saveexec_b32 s29, s28
	s_cbranch_execz .LBB0_126
.LBB0_132:                              ;   in Loop: Header=BB0_128 Depth=2
	s_wait_loadcnt_dscnt 0x0
	v_add_nc_u64_e32 v[96:97], 8, v[52:53]
	v_mov_b32_e32 v116, 0
	s_or_b32 s27, s27, exec_lo
	s_delay_alu instid0(VALU_DEP_2)
	v_cmp_ge_u64_e64 s9, v[96:97], v[10:11]
	s_or_not1_b32 s26, s9, exec_lo
	s_branch .LBB0_126
.LBB0_133:                              ;   in Loop: Header=BB0_70 Depth=1
	s_or_b32 exec_lo, exec_lo, s17
                                        ; implicit-def: $vgpr1
	s_and_not1_saveexec_b32 s16, s16
	s_cbranch_execz .LBB0_69
	s_branch .LBB0_122
.LBB0_134:                              ;   in Loop: Header=BB0_70 Depth=1
	v_and_b32_e32 v1, 7, v22
	v_and_b32_e32 v13, 7, v26
	v_add_nc_u64_e32 v[98:99], v[70:71], v[10:11]
	v_add_nc_u32_e32 v117, 1, v22
	s_mov_b32 s19, 0
	v_mul_lo_u32 v12, v1, s14
	v_mul_lo_u32 v96, v13, s14
	s_delay_alu instid0(VALU_DEP_2) | instskip(NEXT) | instid1(VALU_DEP_2)
	v_dual_add_nc_u32 v1, 1, v26 :: v_dual_ashrrev_i32 v13, 31, v12
	v_ashrrev_i32_e32 v97, 31, v96
	s_delay_alu instid0(VALU_DEP_2) | instskip(NEXT) | instid1(VALU_DEP_2)
	v_lshl_add_u64 v[100:101], v[12:13], 4, v[20:21]
	v_lshl_add_u64 v[102:103], v[96:97], 4, v[24:25]
	v_mov_b32_e32 v96, v0
	s_branch .LBB0_136
.LBB0_135:                              ;   in Loop: Header=BB0_136 Depth=2
	v_sub_nc_u32_e32 v48, v48, v68
	s_wait_xcnt 0x0
	v_add_nc_u64_e32 v[98:99], v[98:99], v[68:69]
	v_add_nc_u32_e32 v96, v96, v2
	s_delay_alu instid0(VALU_DEP_3) | instskip(SKIP_1) | instid1(SALU_CYCLE_1)
	v_cmp_gt_i32_e32 vcc_lo, 1, v48
	s_or_b32 s19, vcc_lo, s19
	s_and_not1_b32 exec_lo, exec_lo, s19
	s_cbranch_execz .LBB0_198
.LBB0_136:                              ;   Parent Loop BB0_70 Depth=1
                                        ; =>  This Loop Header: Depth=2
                                        ;       Child Loop BB0_140 Depth 3
	s_delay_alu instid0(VALU_DEP_1) | instskip(SKIP_2) | instid1(VALU_DEP_3)
	v_ashrrev_i32_e32 v97, 31, v96
	v_cmp_eq_u32_e32 vcc_lo, 0, v116
	v_mov_b32_e32 v116, 1
	v_lshl_add_u64 v[112:113], v[96:97], 4, v[100:101]
	global_load_b128 v[10:13], v[112:113], off th:TH_LOAD_NT
	s_wait_xcnt 0x0
	s_and_saveexec_b32 s20, vcc_lo
	s_cbranch_execz .LBB0_148
; %bb.137:                              ;   in Loop: Header=BB0_136 Depth=2
	s_wait_loadcnt 0x0
	v_cmp_ne_u32_e32 vcc_lo, v117, v11
	v_cmp_ne_u32_e64 s9, v117, v13
	v_mov_b32_e32 v116, 0
	s_or_b32 s9, vcc_lo, s9
	s_delay_alu instid0(SALU_CYCLE_1)
	s_and_saveexec_b32 s21, s9
	s_cbranch_execz .LBB0_147
; %bb.138:                              ;   in Loop: Header=BB0_136 Depth=2
	s_mov_b32 s25, 1
	s_mov_b32 s23, 0
                                        ; implicit-def: $sgpr22
                                        ; implicit-def: $sgpr24
	s_branch .LBB0_140
.LBB0_139:                              ;   in Loop: Header=BB0_140 Depth=3
	s_or_b32 exec_lo, exec_lo, s27
	s_delay_alu instid0(SALU_CYCLE_1) | instskip(NEXT) | instid1(SALU_CYCLE_1)
	s_and_b32 s9, exec_lo, s9
	s_or_b32 s23, s9, s23
	s_and_not1_b32 s9, s22, exec_lo
	s_and_b32 s22, s24, exec_lo
	s_delay_alu instid0(SALU_CYCLE_1)
	s_or_b32 s22, s9, s22
	s_and_not1_b32 exec_lo, exec_lo, s23
	s_cbranch_execz .LBB0_144
.LBB0_140:                              ;   Parent Loop BB0_70 Depth=1
                                        ;     Parent Loop BB0_136 Depth=2
                                        ; =>    This Inner Loop Header: Depth=3
	s_wait_loadcnt 0x0
	global_load_b128 v[10:13], v[112:113], off th:TH_LOAD_NT
	s_add_co_i32 s25, s25, 1
	s_mov_b32 s9, -1
	s_cmp_lg_u32 s25, 0x2710
	s_mov_b32 s26, -1
                                        ; implicit-def: $vgpr118
	s_cbranch_scc0 .LBB0_142
; %bb.141:                              ;   in Loop: Header=BB0_140 Depth=3
	s_or_b32 s24, s24, exec_lo
	s_wait_xcnt 0x0
	s_and_saveexec_b32 s27, s26
	s_cbranch_execz .LBB0_139
	s_branch .LBB0_143
.LBB0_142:                              ;   in Loop: Header=BB0_140 Depth=3
	s_trap 2
	ds_load_b64 v[118:119], v0
	s_mov_b32 s25, 0
	s_wait_storecnt 0x0
	s_wait_loadcnt_dscnt 0x0
	flat_load_b32 v118, v[118:119] scope:SCOPE_SYS
	s_wait_loadcnt_dscnt 0x0
	global_inv scope:SCOPE_SYS
	v_cmp_eq_u32_e32 vcc_lo, 0, v118
	s_or_not1_b32 s26, vcc_lo, exec_lo
	s_or_b32 s24, s24, exec_lo
	s_and_saveexec_b32 s27, s26
	s_cbranch_execz .LBB0_139
.LBB0_143:                              ;   in Loop: Header=BB0_140 Depth=3
	s_wait_loadcnt 0x0
	v_cmp_eq_u32_e32 vcc_lo, v117, v11
	v_cmp_eq_u32_e64 s9, v117, v13
	s_and_not1_b32 s24, s24, exec_lo
	s_and_b32 s9, vcc_lo, s9
	s_delay_alu instid0(SALU_CYCLE_1)
	s_or_not1_b32 s9, s9, exec_lo
	s_branch .LBB0_139
.LBB0_144:                              ;   in Loop: Header=BB0_136 Depth=2
	s_or_b32 exec_lo, exec_lo, s23
	v_mov_b32_e32 v116, 0
	s_and_saveexec_b32 s9, s22
	s_delay_alu instid0(SALU_CYCLE_1)
	s_xor_b32 s9, exec_lo, s9
	s_cbranch_execz .LBB0_146
; %bb.145:                              ;   in Loop: Header=BB0_136 Depth=2
	v_mov_b32_e32 v116, 1
	s_wait_storecnt 0x0
	s_wait_loadcnt_dscnt 0x0
	ds_store_b32 v0, v118
	s_trap 2
.LBB0_146:                              ;   in Loop: Header=BB0_136 Depth=2
	s_or_b32 exec_lo, exec_lo, s9
.LBB0_147:                              ;   in Loop: Header=BB0_136 Depth=2
	s_delay_alu instid0(SALU_CYCLE_1)
	s_or_b32 exec_lo, exec_lo, s21
.LBB0_148:                              ;   in Loop: Header=BB0_136 Depth=2
	s_delay_alu instid0(SALU_CYCLE_1)
	s_or_b32 exec_lo, exec_lo, s20
	v_cmp_lt_u32_e32 vcc_lo, 7, v48
	v_lshl_add_u64 v[112:113], v[96:97], 4, v[102:103]
	s_wait_loadcnt 0x0
	v_dual_mov_b32 v11, v1 :: v_dual_mov_b32 v13, v1
	s_mov_b32 s9, -1
	s_cmp_lg_u32 vcc_lo, exec_lo
	global_store_b128 v[112:113], v[10:13], off
	s_cbranch_scc0 .LBB0_164
; %bb.149:                              ;   in Loop: Header=BB0_136 Depth=2
	s_mov_b32 s20, exec_lo
	flat_store_b8 v[98:99], v10
	s_wait_xcnt 0x0
	v_cmpx_ne_u32_e32 1, v48
	s_cbranch_execz .LBB0_151
; %bb.150:                              ;   in Loop: Header=BB0_136 Depth=2
	v_lshrrev_b32_e32 v11, 8, v10
	flat_store_b8 v[98:99], v11 offset:1
.LBB0_151:                              ;   in Loop: Header=BB0_136 Depth=2
	s_wait_xcnt 0x0
	s_or_b32 exec_lo, exec_lo, s20
	s_delay_alu instid0(SALU_CYCLE_1)
	s_mov_b32 s20, exec_lo
	v_cmpx_lt_u32_e32 2, v48
	s_cbranch_execz .LBB0_153
; %bb.152:                              ;   in Loop: Header=BB0_136 Depth=2
	flat_store_d16_hi_b8 v[98:99], v10 offset:2
.LBB0_153:                              ;   in Loop: Header=BB0_136 Depth=2
	s_wait_xcnt 0x0
	s_or_b32 exec_lo, exec_lo, s20
	s_delay_alu instid0(SALU_CYCLE_1)
	s_mov_b32 s20, exec_lo
	v_cmpx_lt_u32_e32 3, v48
	s_cbranch_execz .LBB0_155
; %bb.154:                              ;   in Loop: Header=BB0_136 Depth=2
	v_lshrrev_b32_e32 v11, 24, v10
	flat_store_b8 v[98:99], v11 offset:3
.LBB0_155:                              ;   in Loop: Header=BB0_136 Depth=2
	s_wait_xcnt 0x0
	s_or_b32 exec_lo, exec_lo, s20
	s_delay_alu instid0(SALU_CYCLE_1)
	s_mov_b32 s20, exec_lo
	v_cmpx_lt_u32_e32 4, v48
	s_cbranch_execz .LBB0_157
; %bb.156:                              ;   in Loop: Header=BB0_136 Depth=2
	flat_store_b8 v[98:99], v12 offset:4
.LBB0_157:                              ;   in Loop: Header=BB0_136 Depth=2
	s_wait_xcnt 0x0
	s_or_b32 exec_lo, exec_lo, s20
	s_delay_alu instid0(SALU_CYCLE_1)
	s_mov_b32 s20, exec_lo
	v_cmpx_lt_u32_e32 5, v48
	s_cbranch_execz .LBB0_159
; %bb.158:                              ;   in Loop: Header=BB0_136 Depth=2
	v_lshrrev_b32_e32 v11, 8, v12
	flat_store_b8 v[98:99], v11 offset:5
.LBB0_159:                              ;   in Loop: Header=BB0_136 Depth=2
	s_wait_xcnt 0x0
	s_or_b32 exec_lo, exec_lo, s20
	s_delay_alu instid0(SALU_CYCLE_1)
	s_mov_b32 s20, exec_lo
	v_cmpx_lt_u32_e32 6, v48
	s_cbranch_execz .LBB0_161
; %bb.160:                              ;   in Loop: Header=BB0_136 Depth=2
	flat_store_d16_hi_b8 v[98:99], v12 offset:6
.LBB0_161:                              ;   in Loop: Header=BB0_136 Depth=2
	s_wait_xcnt 0x0
	s_or_b32 exec_lo, exec_lo, s20
	s_and_saveexec_b32 s9, vcc_lo
	s_cbranch_execz .LBB0_163
; %bb.162:                              ;   in Loop: Header=BB0_136 Depth=2
	v_lshrrev_b32_e32 v11, 24, v12
	flat_store_b8 v[98:99], v11 offset:7
.LBB0_163:                              ;   in Loop: Header=BB0_136 Depth=2
	s_wait_xcnt 0x0
	s_or_b32 exec_lo, exec_lo, s9
	s_mov_b32 s9, 0
.LBB0_164:                              ;   in Loop: Header=BB0_136 Depth=2
	s_delay_alu instid0(SALU_CYCLE_1)
	s_and_b32 vcc_lo, exec_lo, s9
	s_cbranch_vccz .LBB0_135
; %bb.165:                              ;   in Loop: Header=BB0_136 Depth=2
	s_wait_xcnt 0x0
	v_mov_b32_e32 v11, v12
	global_store_b64 v[98:99], v[10:11], off
	s_branch .LBB0_135
.LBB0_166:                              ;   in Loop: Header=BB0_70 Depth=1
	v_dual_add_nc_u32 v48, 1, v22 :: v_dual_bitop2_b32 v12, 7, v22 bitop3:0x40
	v_add_nc_u64_e32 v[96:97], v[70:71], v[10:11]
	s_mov_b32 s19, 0
	v_mov_b32_e32 v100, v0
	s_delay_alu instid0(VALU_DEP_3) | instskip(NEXT) | instid1(VALU_DEP_1)
	v_mul_lo_u32 v12, v12, s14
	v_ashrrev_i32_e32 v13, 31, v12
	s_delay_alu instid0(VALU_DEP_1)
	v_lshl_add_u64 v[98:99], v[12:13], 4, v[20:21]
	s_branch .LBB0_168
.LBB0_167:                              ;   in Loop: Header=BB0_168 Depth=2
	v_dual_sub_nc_u32 v1, v1, v68 :: v_dual_add_nc_u32 v100, v100, v2
	s_wait_xcnt 0x0
	v_add_nc_u64_e32 v[96:97], v[96:97], v[68:69]
	s_delay_alu instid0(VALU_DEP_2) | instskip(SKIP_1) | instid1(SALU_CYCLE_1)
	v_cmp_gt_i32_e32 vcc_lo, 1, v1
	s_or_b32 s19, vcc_lo, s19
	s_and_not1_b32 exec_lo, exec_lo, s19
	s_cbranch_execz .LBB0_210
.LBB0_168:                              ;   Parent Loop BB0_70 Depth=1
                                        ; =>  This Loop Header: Depth=2
                                        ;       Child Loop BB0_172 Depth 3
	v_ashrrev_i32_e32 v101, 31, v100
	v_cmp_eq_u32_e32 vcc_lo, 0, v116
	v_mov_b32_e32 v116, 1
	s_delay_alu instid0(VALU_DEP_3)
	v_lshl_add_u64 v[102:103], v[100:101], 4, v[98:99]
	s_wait_loadcnt 0x0
	global_load_b128 v[10:13], v[102:103], off th:TH_LOAD_NT
	s_wait_xcnt 0x0
	s_and_saveexec_b32 s20, vcc_lo
	s_cbranch_execz .LBB0_180
; %bb.169:                              ;   in Loop: Header=BB0_168 Depth=2
	s_wait_loadcnt 0x0
	v_cmp_ne_u32_e32 vcc_lo, v48, v11
	v_cmp_ne_u32_e64 s9, v48, v13
	v_mov_b32_e32 v116, 0
	s_or_b32 s9, vcc_lo, s9
	s_delay_alu instid0(SALU_CYCLE_1)
	s_and_saveexec_b32 s21, s9
	s_cbranch_execz .LBB0_179
; %bb.170:                              ;   in Loop: Header=BB0_168 Depth=2
	s_mov_b32 s25, 1
	s_mov_b32 s23, 0
                                        ; implicit-def: $sgpr22
                                        ; implicit-def: $sgpr24
	s_branch .LBB0_172
.LBB0_171:                              ;   in Loop: Header=BB0_172 Depth=3
	s_or_b32 exec_lo, exec_lo, s27
	s_delay_alu instid0(SALU_CYCLE_1) | instskip(NEXT) | instid1(SALU_CYCLE_1)
	s_and_b32 s9, exec_lo, s9
	s_or_b32 s23, s9, s23
	s_and_not1_b32 s9, s22, exec_lo
	s_and_b32 s22, s24, exec_lo
	s_delay_alu instid0(SALU_CYCLE_1)
	s_or_b32 s22, s9, s22
	s_and_not1_b32 exec_lo, exec_lo, s23
	s_cbranch_execz .LBB0_176
.LBB0_172:                              ;   Parent Loop BB0_70 Depth=1
                                        ;     Parent Loop BB0_168 Depth=2
                                        ; =>    This Inner Loop Header: Depth=3
	s_wait_loadcnt 0x0
	global_load_b128 v[10:13], v[102:103], off th:TH_LOAD_NT
	s_add_co_i32 s25, s25, 1
	s_mov_b32 s9, -1
	s_cmp_lg_u32 s25, 0x2710
	s_mov_b32 s26, -1
                                        ; implicit-def: $vgpr101
	s_cbranch_scc0 .LBB0_174
; %bb.173:                              ;   in Loop: Header=BB0_172 Depth=3
	s_or_b32 s24, s24, exec_lo
	s_wait_xcnt 0x0
	s_and_saveexec_b32 s27, s26
	s_cbranch_execz .LBB0_171
	s_branch .LBB0_175
.LBB0_174:                              ;   in Loop: Header=BB0_172 Depth=3
	s_trap 2
	ds_load_b64 v[112:113], v0
	s_mov_b32 s25, 0
	s_wait_storecnt 0x0
	s_wait_loadcnt_dscnt 0x0
	flat_load_b32 v101, v[112:113] scope:SCOPE_SYS
	s_wait_loadcnt_dscnt 0x0
	global_inv scope:SCOPE_SYS
	v_cmp_eq_u32_e32 vcc_lo, 0, v101
	s_or_not1_b32 s26, vcc_lo, exec_lo
	s_or_b32 s24, s24, exec_lo
	s_and_saveexec_b32 s27, s26
	s_cbranch_execz .LBB0_171
.LBB0_175:                              ;   in Loop: Header=BB0_172 Depth=3
	s_wait_loadcnt 0x0
	v_cmp_eq_u32_e32 vcc_lo, v48, v11
	v_cmp_eq_u32_e64 s9, v48, v13
	s_and_not1_b32 s24, s24, exec_lo
	s_and_b32 s9, vcc_lo, s9
	s_delay_alu instid0(SALU_CYCLE_1)
	s_or_not1_b32 s9, s9, exec_lo
	s_branch .LBB0_171
.LBB0_176:                              ;   in Loop: Header=BB0_168 Depth=2
	s_or_b32 exec_lo, exec_lo, s23
	v_mov_b32_e32 v116, 0
	s_and_saveexec_b32 s9, s22
	s_delay_alu instid0(SALU_CYCLE_1)
	s_xor_b32 s9, exec_lo, s9
	s_cbranch_execz .LBB0_178
; %bb.177:                              ;   in Loop: Header=BB0_168 Depth=2
	v_mov_b32_e32 v116, 1
	s_wait_storecnt 0x0
	s_wait_loadcnt_dscnt 0x0
	ds_store_b32 v0, v101
	s_trap 2
.LBB0_178:                              ;   in Loop: Header=BB0_168 Depth=2
	s_or_b32 exec_lo, exec_lo, s9
.LBB0_179:                              ;   in Loop: Header=BB0_168 Depth=2
	s_delay_alu instid0(SALU_CYCLE_1)
	s_or_b32 exec_lo, exec_lo, s21
.LBB0_180:                              ;   in Loop: Header=BB0_168 Depth=2
	s_delay_alu instid0(SALU_CYCLE_1)
	s_or_b32 exec_lo, exec_lo, s20
	v_cmp_lt_u32_e32 vcc_lo, 7, v1
	s_mov_b32 s9, -1
	s_cmp_lg_u32 vcc_lo, exec_lo
	s_cbranch_scc0 .LBB0_196
; %bb.181:                              ;   in Loop: Header=BB0_168 Depth=2
	s_mov_b32 s20, exec_lo
	s_wait_loadcnt 0x0
	flat_store_b8 v[96:97], v10
	s_wait_xcnt 0x0
	v_cmpx_ne_u32_e32 1, v1
	s_cbranch_execz .LBB0_183
; %bb.182:                              ;   in Loop: Header=BB0_168 Depth=2
	v_lshrrev_b32_e32 v11, 8, v10
	flat_store_b8 v[96:97], v11 offset:1
.LBB0_183:                              ;   in Loop: Header=BB0_168 Depth=2
	s_wait_xcnt 0x0
	s_or_b32 exec_lo, exec_lo, s20
	s_delay_alu instid0(SALU_CYCLE_1)
	s_mov_b32 s20, exec_lo
	v_cmpx_lt_u32_e32 2, v1
	s_cbranch_execz .LBB0_185
; %bb.184:                              ;   in Loop: Header=BB0_168 Depth=2
	flat_store_d16_hi_b8 v[96:97], v10 offset:2
.LBB0_185:                              ;   in Loop: Header=BB0_168 Depth=2
	s_wait_xcnt 0x0
	s_or_b32 exec_lo, exec_lo, s20
	s_delay_alu instid0(SALU_CYCLE_1)
	s_mov_b32 s20, exec_lo
	v_cmpx_lt_u32_e32 3, v1
	s_cbranch_execz .LBB0_187
; %bb.186:                              ;   in Loop: Header=BB0_168 Depth=2
	v_lshrrev_b32_e32 v11, 24, v10
	flat_store_b8 v[96:97], v11 offset:3
.LBB0_187:                              ;   in Loop: Header=BB0_168 Depth=2
	s_wait_xcnt 0x0
	s_or_b32 exec_lo, exec_lo, s20
	s_delay_alu instid0(SALU_CYCLE_1)
	s_mov_b32 s20, exec_lo
	v_cmpx_lt_u32_e32 4, v1
	s_cbranch_execz .LBB0_189
; %bb.188:                              ;   in Loop: Header=BB0_168 Depth=2
	flat_store_b8 v[96:97], v12 offset:4
.LBB0_189:                              ;   in Loop: Header=BB0_168 Depth=2
	s_wait_xcnt 0x0
	s_or_b32 exec_lo, exec_lo, s20
	s_delay_alu instid0(SALU_CYCLE_1)
	s_mov_b32 s20, exec_lo
	v_cmpx_lt_u32_e32 5, v1
	s_cbranch_execz .LBB0_191
; %bb.190:                              ;   in Loop: Header=BB0_168 Depth=2
	v_lshrrev_b32_e32 v11, 8, v12
	flat_store_b8 v[96:97], v11 offset:5
.LBB0_191:                              ;   in Loop: Header=BB0_168 Depth=2
	s_wait_xcnt 0x0
	s_or_b32 exec_lo, exec_lo, s20
	s_delay_alu instid0(SALU_CYCLE_1)
	s_mov_b32 s20, exec_lo
	v_cmpx_lt_u32_e32 6, v1
	s_cbranch_execz .LBB0_193
; %bb.192:                              ;   in Loop: Header=BB0_168 Depth=2
	flat_store_d16_hi_b8 v[96:97], v12 offset:6
.LBB0_193:                              ;   in Loop: Header=BB0_168 Depth=2
	s_wait_xcnt 0x0
	s_or_b32 exec_lo, exec_lo, s20
	s_and_saveexec_b32 s9, vcc_lo
	s_cbranch_execz .LBB0_195
; %bb.194:                              ;   in Loop: Header=BB0_168 Depth=2
	v_lshrrev_b32_e32 v11, 24, v12
	flat_store_b8 v[96:97], v11 offset:7
.LBB0_195:                              ;   in Loop: Header=BB0_168 Depth=2
	s_wait_xcnt 0x0
	s_or_b32 exec_lo, exec_lo, s9
	s_mov_b32 s9, 0
.LBB0_196:                              ;   in Loop: Header=BB0_168 Depth=2
	s_delay_alu instid0(SALU_CYCLE_1)
	s_and_b32 vcc_lo, exec_lo, s9
	s_cbranch_vccz .LBB0_167
; %bb.197:                              ;   in Loop: Header=BB0_168 Depth=2
	s_wait_loadcnt 0x0
	v_mov_b32_e32 v11, v12
	global_store_b64 v[96:97], v[10:11], off
	s_branch .LBB0_167
.LBB0_198:                              ;   in Loop: Header=BB0_70 Depth=1
	s_or_b32 exec_lo, exec_lo, s19
	s_delay_alu instid0(SALU_CYCLE_1)
	s_or_b32 exec_lo, exec_lo, s18
	s_and_saveexec_b32 s9, s5
	s_cbranch_execz .LBB0_109
.LBB0_199:                              ;   in Loop: Header=BB0_70 Depth=1
	s_and_saveexec_b32 s18, s6
	s_delay_alu instid0(SALU_CYCLE_1)
	s_xor_b32 s18, exec_lo, s18
	s_cbranch_execz .LBB0_244
; %bb.200:                              ;   in Loop: Header=BB0_70 Depth=1
	s_and_saveexec_b32 s19, s7
	s_cbranch_execz .LBB0_243
; %bb.201:                              ;   in Loop: Header=BB0_70 Depth=1
	s_mov_b32 s21, exec_lo
	s_mov_b32 s20, exec_lo
	v_mbcnt_lo_u32_b32 v1, s21, 0
	global_wb scope:SCOPE_DEV
	s_wait_storecnt 0x0
	s_wait_loadcnt_dscnt 0x0
	global_inv scope:SCOPE_DEV
	v_cmpx_eq_u32_e32 0, v1
	s_cbranch_execz .LBB0_203
; %bb.202:                              ;   in Loop: Header=BB0_70 Depth=1
	s_bcnt1_i32_b32 s21, s21
	s_delay_alu instid0(SALU_CYCLE_1)
	v_mov_b32_e32 v48, s21
	s_wait_loadcnt 0x0
	ds_add_u64 v0, v[48:49]
	s_trap 2
.LBB0_203:                              ;   in Loop: Header=BB0_70 Depth=1
	s_or_b32 exec_lo, exec_lo, s20
	s_trap 2
	ds_load_b64 v[10:11], v0
	s_wait_dscnt 0x0
	v_add_nc_u64_e32 v[36:37], v[36:37], v[66:67]
	s_mov_b32 s20, exec_lo
	s_delay_alu instid0(VALU_DEP_1)
	v_cmpx_lt_u64_e64 v[10:11], v[36:37]
	s_cbranch_execz .LBB0_242
; %bb.204:                              ;   in Loop: Header=BB0_70 Depth=1
	s_mov_b32 s21, 0
	s_mov_b32 s24, 0
                                        ; implicit-def: $sgpr22
                                        ; implicit-def: $sgpr23
	s_branch .LBB0_206
.LBB0_205:                              ;   in Loop: Header=BB0_206 Depth=2
	s_or_b32 exec_lo, exec_lo, s26
	s_delay_alu instid0(SALU_CYCLE_1) | instskip(NEXT) | instid1(SALU_CYCLE_1)
	s_and_b32 s25, exec_lo, s27
	s_or_b32 s21, s25, s21
	s_and_not1_b32 s22, s22, exec_lo
	s_and_b32 s25, s23, exec_lo
	s_delay_alu instid0(SALU_CYCLE_1)
	s_or_b32 s22, s22, s25
	s_and_not1_b32 exec_lo, exec_lo, s21
	s_cbranch_execz .LBB0_240
.LBB0_206:                              ;   Parent Loop BB0_70 Depth=1
                                        ; =>  This Inner Loop Header: Depth=2
	s_add_co_i32 s24, s24, 1
	s_delay_alu instid0(SALU_CYCLE_1) | instskip(SKIP_1) | instid1(SALU_CYCLE_1)
	s_cmp_lg_u32 s24, 0x2710
	s_cselect_b32 s25, -1, 0
	s_and_b32 vcc_lo, exec_lo, s25
	s_cbranch_vccz .LBB0_208
; %bb.207:                              ;   in Loop: Header=BB0_206 Depth=2
	s_mov_b32 s27, -1
	s_or_b32 s23, s23, exec_lo
	s_and_saveexec_b32 s26, s25
	s_cbranch_execz .LBB0_205
	s_branch .LBB0_209
.LBB0_208:                              ;   in Loop: Header=BB0_206 Depth=2
	s_trap 2
	ds_load_b64 v[10:11], v0
	s_and_not1_b32 s25, s25, exec_lo
	s_mov_b32 s24, 0
	s_wait_loadcnt_dscnt 0x0
	flat_load_b32 v1, v[10:11] scope:SCOPE_SYS
	s_wait_loadcnt_dscnt 0x0
	global_inv scope:SCOPE_SYS
	v_cmp_eq_u32_e32 vcc_lo, 0, v1
	s_and_b32 s26, vcc_lo, exec_lo
	s_delay_alu instid0(SALU_CYCLE_1)
	s_or_b32 s25, s25, s26
	s_mov_b32 s27, -1
	s_or_b32 s23, s23, exec_lo
	s_and_saveexec_b32 s26, s25
	s_cbranch_execz .LBB0_205
.LBB0_209:                              ;   in Loop: Header=BB0_206 Depth=2
	s_sleep 1
	s_trap 2
	ds_load_b64 v[10:11], v0
	s_wait_dscnt 0x0
	s_and_not1_b32 s23, s23, exec_lo
	v_cmp_ge_u64_e32 vcc_lo, v[10:11], v[36:37]
	s_or_not1_b32 s27, vcc_lo, exec_lo
	s_branch .LBB0_205
.LBB0_210:                              ;   in Loop: Header=BB0_70 Depth=1
	s_or_b32 exec_lo, exec_lo, s19
	s_delay_alu instid0(SALU_CYCLE_1)
	s_or_b32 exec_lo, exec_lo, s18
	s_and_saveexec_b32 s9, s5
	s_cbranch_execz .LBB0_118
.LBB0_211:                              ;   in Loop: Header=BB0_70 Depth=1
	s_and_saveexec_b32 s18, s6
	s_delay_alu instid0(SALU_CYCLE_1)
	s_xor_b32 s18, exec_lo, s18
	s_cbranch_execz .LBB0_251
; %bb.212:                              ;   in Loop: Header=BB0_70 Depth=1
	s_and_saveexec_b32 s19, s7
	s_cbranch_execz .LBB0_250
; %bb.213:                              ;   in Loop: Header=BB0_70 Depth=1
	s_mov_b32 s21, exec_lo
	s_mov_b32 s20, exec_lo
	v_mbcnt_lo_u32_b32 v1, s21, 0
	global_wb scope:SCOPE_DEV
	s_wait_storecnt 0x0
	s_wait_loadcnt_dscnt 0x0
	global_inv scope:SCOPE_DEV
	v_cmpx_eq_u32_e32 0, v1
	s_cbranch_execz .LBB0_215
; %bb.214:                              ;   in Loop: Header=BB0_70 Depth=1
	s_bcnt1_i32_b32 s21, s21
	s_delay_alu instid0(SALU_CYCLE_1)
	v_mov_b32_e32 v48, s21
	s_wait_loadcnt 0x0
	ds_add_u64 v0, v[48:49]
	s_trap 2
.LBB0_215:                              ;   in Loop: Header=BB0_70 Depth=1
	s_or_b32 exec_lo, exec_lo, s20
	s_trap 2
	ds_load_b64 v[10:11], v0
	s_wait_dscnt 0x0
	v_add_nc_u64_e32 v[36:37], v[36:37], v[66:67]
	s_mov_b32 s20, exec_lo
	s_delay_alu instid0(VALU_DEP_1)
	v_cmpx_lt_u64_e64 v[10:11], v[36:37]
	s_cbranch_execz .LBB0_249
; %bb.216:                              ;   in Loop: Header=BB0_70 Depth=1
	s_mov_b32 s21, 0
	s_mov_b32 s24, 0
                                        ; implicit-def: $sgpr22
                                        ; implicit-def: $sgpr23
	s_branch .LBB0_218
.LBB0_217:                              ;   in Loop: Header=BB0_218 Depth=2
	s_or_b32 exec_lo, exec_lo, s26
	s_delay_alu instid0(SALU_CYCLE_1) | instskip(NEXT) | instid1(SALU_CYCLE_1)
	s_and_b32 s25, exec_lo, s27
	s_or_b32 s21, s25, s21
	s_and_not1_b32 s22, s22, exec_lo
	s_and_b32 s25, s23, exec_lo
	s_delay_alu instid0(SALU_CYCLE_1)
	s_or_b32 s22, s22, s25
	s_and_not1_b32 exec_lo, exec_lo, s21
	s_cbranch_execz .LBB0_247
.LBB0_218:                              ;   Parent Loop BB0_70 Depth=1
                                        ; =>  This Inner Loop Header: Depth=2
	s_add_co_i32 s24, s24, 1
	s_delay_alu instid0(SALU_CYCLE_1) | instskip(SKIP_1) | instid1(SALU_CYCLE_1)
	s_cmp_lg_u32 s24, 0x2710
	s_cselect_b32 s25, -1, 0
	s_and_b32 vcc_lo, exec_lo, s25
	s_cbranch_vccz .LBB0_220
; %bb.219:                              ;   in Loop: Header=BB0_218 Depth=2
	s_mov_b32 s27, -1
	s_or_b32 s23, s23, exec_lo
	s_and_saveexec_b32 s26, s25
	s_cbranch_execz .LBB0_217
	s_branch .LBB0_221
.LBB0_220:                              ;   in Loop: Header=BB0_218 Depth=2
	s_trap 2
	ds_load_b64 v[10:11], v0
	s_and_not1_b32 s25, s25, exec_lo
	s_mov_b32 s24, 0
	s_wait_loadcnt_dscnt 0x0
	flat_load_b32 v1, v[10:11] scope:SCOPE_SYS
	s_wait_loadcnt_dscnt 0x0
	global_inv scope:SCOPE_SYS
	v_cmp_eq_u32_e32 vcc_lo, 0, v1
	s_and_b32 s26, vcc_lo, exec_lo
	s_delay_alu instid0(SALU_CYCLE_1)
	s_or_b32 s25, s25, s26
	s_mov_b32 s27, -1
	s_or_b32 s23, s23, exec_lo
	s_and_saveexec_b32 s26, s25
	s_cbranch_execz .LBB0_217
.LBB0_221:                              ;   in Loop: Header=BB0_218 Depth=2
	s_sleep 1
	s_trap 2
	ds_load_b64 v[10:11], v0
	s_wait_dscnt 0x0
	s_and_not1_b32 s23, s23, exec_lo
	v_cmp_ge_u64_e32 vcc_lo, v[10:11], v[36:37]
	s_or_not1_b32 s27, vcc_lo, exec_lo
	s_branch .LBB0_217
.LBB0_222:                              ;   in Loop: Header=BB0_70 Depth=1
	s_or_b32 exec_lo, exec_lo, s20
	s_xor_b32 s9, s21, -1
	s_delay_alu instid0(SALU_CYCLE_1) | instskip(NEXT) | instid1(SALU_CYCLE_1)
	s_and_saveexec_b32 s20, s9
	s_xor_b32 s9, exec_lo, s20
	s_cbranch_execz .LBB0_224
; %bb.223:                              ;   in Loop: Header=BB0_70 Depth=1
	v_mov_b32_e32 v116, 1
	s_wait_storecnt 0x0
	s_wait_loadcnt_dscnt 0x0
	ds_store_b32 v0, v9
	s_trap 2
.LBB0_224:                              ;   in Loop: Header=BB0_70 Depth=1
	s_or_b32 exec_lo, exec_lo, s9
.LBB0_225:                              ;   in Loop: Header=BB0_70 Depth=1
	s_delay_alu instid0(SALU_CYCLE_1)
	s_or_b32 exec_lo, exec_lo, s19
	s_and_saveexec_b32 s9, s4
	s_cbranch_execz .LBB0_227
; %bb.226:                              ;   in Loop: Header=BB0_70 Depth=1
	v_and_b32_e32 v48, 0x7ffffff8, v8
	v_and_b32_e32 v8, 7, v8
	s_delay_alu instid0(VALU_DEP_2) | instskip(NEXT) | instid1(VALU_DEP_2)
	v_cmp_eq_u64_e32 vcc_lo, 0x7ffffff8, v[48:49]
	v_mad_nc_u64_u32 v[8:9], v8, 24, v[6:7]
	v_cndmask_b32_e64 v12, v12, s14, vcc_lo
	s_delay_alu instid0(VALU_DEP_1) | instskip(NEXT) | instid1(VALU_DEP_1)
	v_lshlrev_b32_e32 v12, 4, v12
	v_ashrrev_i32_e32 v13, 31, v12
	flat_store_b64 v[8:9], v[12:13] offset:8 scope:SCOPE_SYS
	s_wait_storecnt 0x0
.LBB0_227:                              ;   in Loop: Header=BB0_70 Depth=1
	s_wait_xcnt 0x0
	s_or_b32 exec_lo, exec_lo, s9
	v_mov_b64_e32 v[8:9], v[10:11]
.LBB0_228:                              ;   in Loop: Header=BB0_70 Depth=1
	s_or_b32 exec_lo, exec_lo, s18
	s_and_saveexec_b32 s9, s5
	s_cbranch_execz .LBB0_261
; %bb.229:                              ;   in Loop: Header=BB0_70 Depth=1
	s_and_saveexec_b32 s18, s6
	s_delay_alu instid0(SALU_CYCLE_1)
	s_xor_b32 s18, exec_lo, s18
	s_cbranch_execz .LBB0_258
; %bb.230:                              ;   in Loop: Header=BB0_70 Depth=1
	s_and_saveexec_b32 s19, s7
	s_cbranch_execz .LBB0_257
; %bb.231:                              ;   in Loop: Header=BB0_70 Depth=1
	s_mov_b32 s21, exec_lo
	s_mov_b32 s20, exec_lo
	v_mbcnt_lo_u32_b32 v10, s21, 0
	global_wb scope:SCOPE_DEV
	s_wait_storecnt 0x0
	s_wait_loadcnt_dscnt 0x0
	global_inv scope:SCOPE_DEV
	v_cmpx_eq_u32_e32 0, v10
	s_cbranch_execz .LBB0_233
; %bb.232:                              ;   in Loop: Header=BB0_70 Depth=1
	s_bcnt1_i32_b32 s21, s21
	s_delay_alu instid0(SALU_CYCLE_1)
	v_mov_b32_e32 v48, s21
	s_wait_loadcnt 0x0
	ds_add_u64 v0, v[48:49]
	s_trap 2
.LBB0_233:                              ;   in Loop: Header=BB0_70 Depth=1
	s_or_b32 exec_lo, exec_lo, s20
	s_trap 2
	ds_load_b64 v[10:11], v0
	s_wait_dscnt 0x0
	v_add_nc_u64_e32 v[36:37], v[36:37], v[66:67]
	s_mov_b32 s20, exec_lo
	s_delay_alu instid0(VALU_DEP_1)
	v_cmpx_lt_u64_e64 v[10:11], v[36:37]
	s_cbranch_execz .LBB0_256
; %bb.234:                              ;   in Loop: Header=BB0_70 Depth=1
	s_mov_b32 s21, 0
	s_mov_b32 s24, 0
                                        ; implicit-def: $sgpr22
                                        ; implicit-def: $sgpr23
	s_branch .LBB0_236
.LBB0_235:                              ;   in Loop: Header=BB0_236 Depth=2
	s_or_b32 exec_lo, exec_lo, s26
	s_delay_alu instid0(SALU_CYCLE_1) | instskip(NEXT) | instid1(SALU_CYCLE_1)
	s_and_b32 s25, exec_lo, s27
	s_or_b32 s21, s25, s21
	s_and_not1_b32 s22, s22, exec_lo
	s_and_b32 s25, s23, exec_lo
	s_delay_alu instid0(SALU_CYCLE_1)
	s_or_b32 s22, s22, s25
	s_and_not1_b32 exec_lo, exec_lo, s21
	s_cbranch_execz .LBB0_254
.LBB0_236:                              ;   Parent Loop BB0_70 Depth=1
                                        ; =>  This Inner Loop Header: Depth=2
	s_add_co_i32 s24, s24, 1
	s_delay_alu instid0(SALU_CYCLE_1) | instskip(SKIP_1) | instid1(SALU_CYCLE_1)
	s_cmp_lg_u32 s24, 0x2710
	s_cselect_b32 s25, -1, 0
	s_and_b32 vcc_lo, exec_lo, s25
	s_cbranch_vccz .LBB0_238
; %bb.237:                              ;   in Loop: Header=BB0_236 Depth=2
	s_mov_b32 s27, -1
	s_or_b32 s23, s23, exec_lo
	s_and_saveexec_b32 s26, s25
	s_cbranch_execz .LBB0_235
	s_branch .LBB0_239
.LBB0_238:                              ;   in Loop: Header=BB0_236 Depth=2
	s_trap 2
	ds_load_b64 v[10:11], v0
	s_and_not1_b32 s25, s25, exec_lo
	s_mov_b32 s24, 0
	s_wait_loadcnt_dscnt 0x0
	flat_load_b32 v10, v[10:11] scope:SCOPE_SYS
	s_wait_loadcnt_dscnt 0x0
	global_inv scope:SCOPE_SYS
	v_cmp_eq_u32_e32 vcc_lo, 0, v10
	s_and_b32 s26, vcc_lo, exec_lo
	s_delay_alu instid0(SALU_CYCLE_1)
	s_or_b32 s25, s25, s26
	s_mov_b32 s27, -1
	s_or_b32 s23, s23, exec_lo
	s_and_saveexec_b32 s26, s25
	s_cbranch_execz .LBB0_235
.LBB0_239:                              ;   in Loop: Header=BB0_236 Depth=2
	s_sleep 1
	s_trap 2
	ds_load_b64 v[10:11], v0
	s_wait_dscnt 0x0
	s_and_not1_b32 s23, s23, exec_lo
	v_cmp_ge_u64_e32 vcc_lo, v[10:11], v[36:37]
	s_or_not1_b32 s27, vcc_lo, exec_lo
	s_branch .LBB0_235
.LBB0_240:                              ;   in Loop: Header=BB0_70 Depth=1
	s_or_b32 exec_lo, exec_lo, s21
	s_and_saveexec_b32 s21, s22
	s_delay_alu instid0(SALU_CYCLE_1)
	s_xor_b32 s21, exec_lo, s21
	s_cbranch_execz .LBB0_242
; %bb.241:                              ;   in Loop: Header=BB0_70 Depth=1
	ds_store_b32 v0, v115
	s_trap 2
.LBB0_242:                              ;   in Loop: Header=BB0_70 Depth=1
	s_or_b32 exec_lo, exec_lo, s20
	;;#ASMSTART
	s_wakeup
	;;#ASMEND
.LBB0_243:                              ;   in Loop: Header=BB0_70 Depth=1
	s_or_b32 exec_lo, exec_lo, s19
.LBB0_244:                              ;   in Loop: Header=BB0_70 Depth=1
	s_and_not1_saveexec_b32 s18, s18
	s_cbranch_execz .LBB0_246
; %bb.245:                              ;   in Loop: Header=BB0_70 Depth=1
	global_wb scope:SCOPE_DEV
	s_wait_storecnt 0x0
	s_wait_loadcnt_dscnt 0x0
	global_inv scope:SCOPE_DEV
	s_barrier_signal -1
	s_barrier_wait -1
.LBB0_246:                              ;   in Loop: Header=BB0_70 Depth=1
	s_or_b32 exec_lo, exec_lo, s18
	s_delay_alu instid0(SALU_CYCLE_1)
	s_or_b32 exec_lo, exec_lo, s9
	s_and_saveexec_b32 s9, s8
	s_cbranch_execnz .LBB0_110
	s_branch .LBB0_111
.LBB0_247:                              ;   in Loop: Header=BB0_70 Depth=1
	s_or_b32 exec_lo, exec_lo, s21
	s_and_saveexec_b32 s21, s22
	s_delay_alu instid0(SALU_CYCLE_1)
	s_xor_b32 s21, exec_lo, s21
	s_cbranch_execz .LBB0_249
; %bb.248:                              ;   in Loop: Header=BB0_70 Depth=1
	ds_store_b32 v0, v115
	s_trap 2
.LBB0_249:                              ;   in Loop: Header=BB0_70 Depth=1
	s_or_b32 exec_lo, exec_lo, s20
	;;#ASMSTART
	s_wakeup
	;;#ASMEND
.LBB0_250:                              ;   in Loop: Header=BB0_70 Depth=1
	s_or_b32 exec_lo, exec_lo, s19
.LBB0_251:                              ;   in Loop: Header=BB0_70 Depth=1
	s_and_not1_saveexec_b32 s18, s18
	s_cbranch_execz .LBB0_253
; %bb.252:                              ;   in Loop: Header=BB0_70 Depth=1
	global_wb scope:SCOPE_DEV
	s_wait_storecnt 0x0
	s_wait_loadcnt_dscnt 0x0
	global_inv scope:SCOPE_DEV
	s_barrier_signal -1
	s_barrier_wait -1
.LBB0_253:                              ;   in Loop: Header=BB0_70 Depth=1
	s_or_b32 exec_lo, exec_lo, s18
	s_delay_alu instid0(SALU_CYCLE_1)
	s_or_b32 exec_lo, exec_lo, s9
	s_and_saveexec_b32 s9, s8
	s_cbranch_execnz .LBB0_119
	s_branch .LBB0_120
.LBB0_254:                              ;   in Loop: Header=BB0_70 Depth=1
	s_or_b32 exec_lo, exec_lo, s21
	s_and_saveexec_b32 s21, s22
	s_delay_alu instid0(SALU_CYCLE_1)
	s_xor_b32 s21, exec_lo, s21
	s_cbranch_execz .LBB0_256
; %bb.255:                              ;   in Loop: Header=BB0_70 Depth=1
	ds_store_b32 v0, v115
	s_trap 2
.LBB0_256:                              ;   in Loop: Header=BB0_70 Depth=1
	s_or_b32 exec_lo, exec_lo, s20
	;;#ASMSTART
	s_wakeup
	;;#ASMEND
.LBB0_257:                              ;   in Loop: Header=BB0_70 Depth=1
	s_or_b32 exec_lo, exec_lo, s19
.LBB0_258:                              ;   in Loop: Header=BB0_70 Depth=1
	s_and_not1_saveexec_b32 s18, s18
	s_cbranch_execz .LBB0_260
; %bb.259:                              ;   in Loop: Header=BB0_70 Depth=1
	global_wb scope:SCOPE_DEV
	s_wait_storecnt 0x0
	s_wait_loadcnt_dscnt 0x0
	global_inv scope:SCOPE_DEV
	s_barrier_signal -1
	s_barrier_wait -1
.LBB0_260:                              ;   in Loop: Header=BB0_70 Depth=1
	s_or_b32 exec_lo, exec_lo, s18
.LBB0_261:                              ;   in Loop: Header=BB0_70 Depth=1
	s_delay_alu instid0(SALU_CYCLE_1) | instskip(SKIP_2) | instid1(VALU_DEP_1)
	s_or_b32 exec_lo, exec_lo, s9
	v_dual_mov_b32 v96, v0 :: v_dual_sub_nc_u32 v97, v1, v54
	s_mov_b32 s18, exec_lo
	v_cmpx_lt_i32_e32 0, v97
	s_cbranch_execz .LBB0_287
; %bb.262:                              ;   in Loop: Header=BB0_70 Depth=1
	v_and_b32_e32 v10, 7, v26
	v_mov_b64_e32 v[98:99], 0
	v_dual_mov_b32 v112, v3 :: v_dual_add_nc_u32 v11, 1, v26
	s_mov_b32 s19, 0
	s_delay_alu instid0(VALU_DEP_3) | instskip(SKIP_1) | instid1(VALU_DEP_1)
	v_mul_lo_u32 v12, v10, s14
	v_not_b32_e32 v10, v54
	v_dual_mov_b32 v96, v0 :: v_dual_add_nc_u32 v1, v10, v1
	s_delay_alu instid0(VALU_DEP_3) | instskip(NEXT) | instid1(VALU_DEP_1)
	v_ashrrev_i32_e32 v13, 31, v12
	v_lshl_add_u64 v[100:101], v[12:13], 4, v[86:87]
	s_branch .LBB0_264
.LBB0_263:                              ;   in Loop: Header=BB0_264 Depth=2
	v_dual_sub_nc_u32 v97, v97, v68 :: v_dual_add_nc_u32 v96, v96, v2
	v_add_nc_u64_e32 v[98:99], v[98:99], v[68:69]
	s_wait_xcnt 0x0
	v_add_nc_u64_e32 v[100:101], v[100:101], v[82:83]
	v_add_nc_u32_e32 v112, v112, v114
	v_cmp_gt_i32_e32 vcc_lo, 1, v97
	s_or_b32 s19, vcc_lo, s19
	s_delay_alu instid0(SALU_CYCLE_1)
	s_and_not1_b32 exec_lo, exec_lo, s19
	s_cbranch_execz .LBB0_286
.LBB0_264:                              ;   Parent Loop BB0_70 Depth=1
                                        ; =>  This Inner Loop Header: Depth=2
	v_add_nc_u64_e32 v[102:103], v[80:81], v[98:99]
	v_min_u32_e32 v48, 8, v97
	s_mov_b32 s9, exec_lo
	v_dual_mov_b32 v113, 0 :: v_dual_mov_b32 v117, 0
	s_delay_alu instid0(VALU_DEP_3) | instskip(SKIP_4) | instid1(VALU_DEP_1)
	v_dual_mov_b32 v13, v103 :: v_dual_bitop2_b32 v12, -4, v102 bitop3:0x40
	v_and_b32_e32 v102, 3, v102
	global_load_b32 v10, v[12:13], off th:TH_LOAD_NT
	v_add_nc_u32_e32 v48, v102, v48
	s_wait_xcnt 0x0
	v_cmpx_lt_u32_e32 4, v48
	s_cbranch_execz .LBB0_266
; %bb.265:                              ;   in Loop: Header=BB0_264 Depth=2
	global_load_b32 v117, v[12:13], off offset:4 th:TH_LOAD_NT
.LBB0_266:                              ;   in Loop: Header=BB0_264 Depth=2
	s_wait_xcnt 0x0
	s_or_b32 exec_lo, exec_lo, s9
	s_delay_alu instid0(SALU_CYCLE_1)
	s_mov_b32 s9, exec_lo
	v_cmpx_lt_u64_e32 8, v[48:49]
	s_cbranch_execz .LBB0_268
; %bb.267:                              ;   in Loop: Header=BB0_264 Depth=2
	global_load_b32 v113, v[12:13], off offset:8 th:TH_LOAD_NT
.LBB0_268:                              ;   in Loop: Header=BB0_264 Depth=2
	s_wait_xcnt 0x0
	s_or_b32 exec_lo, exec_lo, s9
	v_add_nc_u64_e32 v[102:103], v[84:85], v[98:99]
	v_cmp_lt_u32_e32 vcc_lo, 7, v97
	s_wait_loadcnt 0x0
	v_alignbit_b32 v10, v117, v10, v112
	v_alignbit_b32 v12, v113, v117, v112
	v_mov_b32_e32 v13, v11
	s_mov_b32 s9, -1
	s_cmp_lg_u32 vcc_lo, exec_lo
	global_store_b128 v[100:101], v[10:13], off
	s_cbranch_scc0 .LBB0_284
; %bb.269:                              ;   in Loop: Header=BB0_264 Depth=2
	s_mov_b32 s20, exec_lo
	flat_store_b8 v[102:103], v10
	s_wait_xcnt 0x0
	v_cmpx_ne_u32_e64 v1, v98
	s_cbranch_execz .LBB0_271
; %bb.270:                              ;   in Loop: Header=BB0_264 Depth=2
	v_lshrrev_b32_e32 v13, 8, v10
	flat_store_b8 v[102:103], v13 offset:1
.LBB0_271:                              ;   in Loop: Header=BB0_264 Depth=2
	s_wait_xcnt 0x0
	s_or_b32 exec_lo, exec_lo, s20
	s_delay_alu instid0(SALU_CYCLE_1)
	s_mov_b32 s20, exec_lo
	v_cmpx_lt_u32_e32 2, v97
	s_cbranch_execz .LBB0_273
; %bb.272:                              ;   in Loop: Header=BB0_264 Depth=2
	flat_store_d16_hi_b8 v[102:103], v10 offset:2
.LBB0_273:                              ;   in Loop: Header=BB0_264 Depth=2
	s_wait_xcnt 0x0
	s_or_b32 exec_lo, exec_lo, s20
	s_delay_alu instid0(SALU_CYCLE_1)
	s_mov_b32 s20, exec_lo
	v_cmpx_lt_u32_e32 3, v97
	s_cbranch_execz .LBB0_275
; %bb.274:                              ;   in Loop: Header=BB0_264 Depth=2
	v_lshrrev_b32_e32 v13, 24, v10
	flat_store_b8 v[102:103], v13 offset:3
.LBB0_275:                              ;   in Loop: Header=BB0_264 Depth=2
	s_wait_xcnt 0x0
	s_or_b32 exec_lo, exec_lo, s20
	s_delay_alu instid0(SALU_CYCLE_1)
	s_mov_b32 s20, exec_lo
	v_cmpx_lt_u32_e32 4, v97
	s_cbranch_execz .LBB0_277
; %bb.276:                              ;   in Loop: Header=BB0_264 Depth=2
	flat_store_b8 v[102:103], v12 offset:4
.LBB0_277:                              ;   in Loop: Header=BB0_264 Depth=2
	s_wait_xcnt 0x0
	s_or_b32 exec_lo, exec_lo, s20
	s_delay_alu instid0(SALU_CYCLE_1)
	s_mov_b32 s20, exec_lo
	v_cmpx_lt_u32_e32 5, v97
	s_cbranch_execz .LBB0_279
; %bb.278:                              ;   in Loop: Header=BB0_264 Depth=2
	v_lshrrev_b32_e32 v13, 8, v12
	flat_store_b8 v[102:103], v13 offset:5
.LBB0_279:                              ;   in Loop: Header=BB0_264 Depth=2
	s_wait_xcnt 0x0
	s_or_b32 exec_lo, exec_lo, s20
	s_delay_alu instid0(SALU_CYCLE_1)
	s_mov_b32 s20, exec_lo
	v_cmpx_lt_u32_e32 6, v97
	s_cbranch_execz .LBB0_281
; %bb.280:                              ;   in Loop: Header=BB0_264 Depth=2
	flat_store_d16_hi_b8 v[102:103], v12 offset:6
.LBB0_281:                              ;   in Loop: Header=BB0_264 Depth=2
	s_wait_xcnt 0x0
	s_or_b32 exec_lo, exec_lo, s20
	s_and_saveexec_b32 s9, vcc_lo
	s_cbranch_execz .LBB0_283
; %bb.282:                              ;   in Loop: Header=BB0_264 Depth=2
	v_lshrrev_b32_e32 v13, 24, v12
	flat_store_b8 v[102:103], v13 offset:7
.LBB0_283:                              ;   in Loop: Header=BB0_264 Depth=2
	s_wait_xcnt 0x0
	s_or_b32 exec_lo, exec_lo, s9
	s_mov_b32 s9, 0
.LBB0_284:                              ;   in Loop: Header=BB0_264 Depth=2
	s_delay_alu instid0(SALU_CYCLE_1)
	s_and_b32 vcc_lo, exec_lo, s9
	s_cbranch_vccz .LBB0_263
; %bb.285:                              ;   in Loop: Header=BB0_264 Depth=2
	v_dual_mov_b32 v118, v10 :: v_dual_mov_b32 v119, v12
	global_store_b64 v[102:103], v[118:119], off
	s_branch .LBB0_263
.LBB0_286:                              ;   in Loop: Header=BB0_70 Depth=1
	s_or_b32 exec_lo, exec_lo, s19
.LBB0_287:                              ;   in Loop: Header=BB0_70 Depth=1
	s_delay_alu instid0(SALU_CYCLE_1) | instskip(SKIP_2) | instid1(VALU_DEP_2)
	s_or_b32 exec_lo, exec_lo, s18
	v_and_b32_e32 v48, 0x7ffffff8, v26
	v_cmp_gt_i32_e64 s9, s14, v96
	v_cmp_eq_u64_e32 vcc_lo, 0x7ffffff8, v[48:49]
	s_and_b32 s18, vcc_lo, s9
	s_delay_alu instid0(SALU_CYCLE_1)
	s_and_saveexec_b32 s9, s18
	s_cbranch_execz .LBB0_290
; %bb.288:                              ;   in Loop: Header=BB0_70 Depth=1
	v_dual_ashrrev_i32 v97, 31, v96 :: v_dual_bitop2_b32 v1, 7, v26 bitop3:0x40
	s_mov_b32 s18, 0
	s_delay_alu instid0(VALU_DEP_1) | instskip(NEXT) | instid1(VALU_DEP_1)
	v_mul_lo_u32 v10, v1, s14
	v_ashrrev_i32_e32 v11, 31, v10
	s_delay_alu instid0(VALU_DEP_1) | instskip(NEXT) | instid1(VALU_DEP_1)
	v_lshlrev_b64_e32 v[10:11], 4, v[10:11]
	v_lshl_add_u64 v[10:11], v[96:97], 4, v[10:11]
	s_delay_alu instid0(VALU_DEP_1)
	v_add_nc_u64_e32 v[98:99], v[24:25], v[10:11]
	v_dual_mov_b32 v10, v49 :: v_dual_add_nc_u32 v11, 1, v26
.LBB0_289:                              ;   Parent Loop BB0_70 Depth=1
                                        ; =>  This Inner Loop Header: Depth=2
	s_delay_alu instid0(VALU_DEP_1) | instskip(NEXT) | instid1(VALU_DEP_2)
	v_dual_mov_b32 v12, v10 :: v_dual_add_nc_u32 v96, v96, v2
	v_mov_b32_e32 v13, v11
	s_delay_alu instid0(VALU_DEP_2) | instskip(SKIP_4) | instid1(SALU_CYCLE_1)
	v_cmp_le_i32_e32 vcc_lo, s14, v96
	global_store_b128 v[98:99], v[10:13], off
	s_wait_xcnt 0x0
	v_add_nc_u64_e32 v[98:99], v[98:99], v[82:83]
	s_or_b32 s18, vcc_lo, s18
	s_and_not1_b32 exec_lo, exec_lo, s18
	s_cbranch_execnz .LBB0_289
.LBB0_290:                              ;   in Loop: Header=BB0_70 Depth=1
	s_or_b32 exec_lo, exec_lo, s9
	v_add_nc_u64_e32 v[26:27], 1, v[26:27]
                                        ; implicit-def: $vgpr1
                                        ; implicit-def: $vgpr12
.LBB0_291:                              ;   in Loop: Header=BB0_70 Depth=1
	s_and_not1_saveexec_b32 s17, s17
	s_cbranch_execz .LBB0_68
; %bb.292:                              ;   in Loop: Header=BB0_70 Depth=1
	s_and_saveexec_b32 s18, s3
	s_cbranch_execz .LBB0_308
; %bb.293:                              ;   in Loop: Header=BB0_70 Depth=1
	v_add_nc_u64_e32 v[10:11], 1, v[8:9]
	s_wait_loadcnt_dscnt 0x0
	v_add_nc_u64_e32 v[96:97], 8, v[52:53]
	s_mov_b32 s19, exec_lo
	s_delay_alu instid0(VALU_DEP_1)
	v_cmpx_lt_u64_e64 v[96:97], v[10:11]
	s_cbranch_execz .LBB0_305
; %bb.294:                              ;   in Loop: Header=BB0_70 Depth=1
	s_mov_b32 s20, 0
	s_mov_b32 s24, 0
	v_cmp_eq_u32_e32 vcc_lo, 0, v116
                                        ; implicit-def: $sgpr21
                                        ; implicit-def: $sgpr22
                                        ; implicit-def: $sgpr23
	s_branch .LBB0_297
.LBB0_295:                              ;   in Loop: Header=BB0_297 Depth=2
	s_or_b32 exec_lo, exec_lo, s29
	s_delay_alu instid0(SALU_CYCLE_1)
	s_and_not1_b32 s9, s23, exec_lo
	s_and_b32 s23, s27, exec_lo
	s_and_not1_b32 s22, s22, exec_lo
	s_and_b32 s26, s26, exec_lo
	s_or_b32 s23, s9, s23
	s_or_b32 s22, s22, s26
.LBB0_296:                              ;   in Loop: Header=BB0_297 Depth=2
	s_or_b32 exec_lo, exec_lo, s25
	s_delay_alu instid0(SALU_CYCLE_1) | instskip(NEXT) | instid1(SALU_CYCLE_1)
	s_and_b32 s9, exec_lo, s22
	s_or_b32 s20, s9, s20
	s_and_not1_b32 s9, s21, exec_lo
	s_and_b32 s21, s23, exec_lo
	s_delay_alu instid0(SALU_CYCLE_1)
	s_or_b32 s21, s9, s21
	s_and_not1_b32 exec_lo, exec_lo, s20
	s_cbranch_execz .LBB0_302
.LBB0_297:                              ;   Parent Loop BB0_70 Depth=1
                                        ; =>  This Inner Loop Header: Depth=2
	s_sleep 1
	s_wait_loadcnt_dscnt 0x0
	flat_load_b64 v[52:53], v[34:35] scope:SCOPE_DEV
	v_mov_b32_e32 v116, 1
	s_or_b32 s23, s23, exec_lo
	s_or_b32 s22, s22, exec_lo
                                        ; implicit-def: $vgpr9
	s_wait_xcnt 0x0
	s_and_saveexec_b32 s25, vcc_lo
	s_cbranch_execz .LBB0_296
; %bb.298:                              ;   in Loop: Header=BB0_297 Depth=2
	s_add_co_i32 s24, s24, 1
	s_mov_b32 s26, -1
	s_cmp_lg_u32 s24, 0x2710
	s_mov_b32 s27, -1
	s_cselect_b32 s28, -1, 0
	s_cmp_eq_u32 s24, 0x2710
                                        ; implicit-def: $vgpr9
	s_cbranch_scc1 .LBB0_300
; %bb.299:                              ;   in Loop: Header=BB0_297 Depth=2
	v_mov_b32_e32 v116, 1
	s_and_saveexec_b32 s29, s28
	s_cbranch_execz .LBB0_295
	s_branch .LBB0_301
.LBB0_300:                              ;   in Loop: Header=BB0_297 Depth=2
	s_trap 2
	ds_load_b64 v[96:97], v0
	s_and_not1_b32 s24, s28, exec_lo
	s_mov_b32 s27, 0
	s_wait_storecnt 0x0
	s_wait_loadcnt_dscnt 0x0
	flat_load_b32 v9, v[96:97] scope:SCOPE_SYS
	s_wait_loadcnt_dscnt 0x0
	global_inv scope:SCOPE_SYS
	v_cmp_eq_u32_e64 s9, 0, v9
	s_and_b32 s9, s9, exec_lo
	s_delay_alu instid0(SALU_CYCLE_1)
	s_or_b32 s28, s24, s9
	s_mov_b32 s24, 0
	v_mov_b32_e32 v116, 1
	s_and_saveexec_b32 s29, s28
	s_cbranch_execz .LBB0_295
.LBB0_301:                              ;   in Loop: Header=BB0_297 Depth=2
	s_wait_loadcnt_dscnt 0x0
	v_add_nc_u64_e32 v[96:97], 8, v[52:53]
	v_mov_b32_e32 v116, 0
	s_or_b32 s27, s27, exec_lo
	s_delay_alu instid0(VALU_DEP_2)
	v_cmp_ge_u64_e64 s9, v[96:97], v[10:11]
	s_or_not1_b32 s26, s9, exec_lo
	s_branch .LBB0_295
.LBB0_302:                              ;   in Loop: Header=BB0_70 Depth=1
	s_or_b32 exec_lo, exec_lo, s20
	s_xor_b32 s9, s21, -1
	s_delay_alu instid0(SALU_CYCLE_1) | instskip(NEXT) | instid1(SALU_CYCLE_1)
	s_and_saveexec_b32 s20, s9
	s_xor_b32 s9, exec_lo, s20
	s_cbranch_execz .LBB0_304
; %bb.303:                              ;   in Loop: Header=BB0_70 Depth=1
	v_mov_b32_e32 v116, 1
	s_wait_storecnt 0x0
	s_wait_loadcnt_dscnt 0x0
	ds_store_b32 v0, v9
	s_trap 2
.LBB0_304:                              ;   in Loop: Header=BB0_70 Depth=1
	s_or_b32 exec_lo, exec_lo, s9
.LBB0_305:                              ;   in Loop: Header=BB0_70 Depth=1
	s_delay_alu instid0(SALU_CYCLE_1)
	s_or_b32 exec_lo, exec_lo, s19
	s_and_saveexec_b32 s9, s4
	s_cbranch_execz .LBB0_307
; %bb.306:                              ;   in Loop: Header=BB0_70 Depth=1
	v_and_b32_e32 v48, 0x7ffffff8, v8
	v_and_b32_e32 v8, 7, v8
	s_delay_alu instid0(VALU_DEP_2) | instskip(NEXT) | instid1(VALU_DEP_2)
	v_cmp_eq_u64_e32 vcc_lo, 0x7ffffff8, v[48:49]
	v_mad_nc_u64_u32 v[8:9], v8, 24, v[6:7]
	v_cndmask_b32_e64 v12, v12, s14, vcc_lo
	s_delay_alu instid0(VALU_DEP_1) | instskip(NEXT) | instid1(VALU_DEP_1)
	v_lshlrev_b32_e32 v12, 4, v12
	v_ashrrev_i32_e32 v13, 31, v12
	flat_store_b64 v[8:9], v[12:13] offset:8 scope:SCOPE_SYS
	s_wait_storecnt 0x0
.LBB0_307:                              ;   in Loop: Header=BB0_70 Depth=1
	s_wait_xcnt 0x0
	s_or_b32 exec_lo, exec_lo, s9
	v_mov_b64_e32 v[8:9], v[10:11]
.LBB0_308:                              ;   in Loop: Header=BB0_70 Depth=1
	s_or_b32 exec_lo, exec_lo, s18
	s_and_saveexec_b32 s9, s5
	s_cbranch_execz .LBB0_327
; %bb.309:                              ;   in Loop: Header=BB0_70 Depth=1
	s_and_saveexec_b32 s18, s6
	s_delay_alu instid0(SALU_CYCLE_1)
	s_xor_b32 s18, exec_lo, s18
	s_cbranch_execz .LBB0_324
; %bb.310:                              ;   in Loop: Header=BB0_70 Depth=1
	s_and_saveexec_b32 s19, s7
	s_cbranch_execz .LBB0_323
; %bb.311:                              ;   in Loop: Header=BB0_70 Depth=1
	s_mov_b32 s21, exec_lo
	s_mov_b32 s20, exec_lo
	v_mbcnt_lo_u32_b32 v10, s21, 0
	global_wb scope:SCOPE_DEV
	s_wait_storecnt 0x0
	s_wait_loadcnt_dscnt 0x0
	global_inv scope:SCOPE_DEV
	v_cmpx_eq_u32_e32 0, v10
	s_cbranch_execz .LBB0_313
; %bb.312:                              ;   in Loop: Header=BB0_70 Depth=1
	s_bcnt1_i32_b32 s21, s21
	s_delay_alu instid0(SALU_CYCLE_1)
	v_mov_b32_e32 v48, s21
	s_wait_loadcnt 0x0
	ds_add_u64 v0, v[48:49]
	s_trap 2
.LBB0_313:                              ;   in Loop: Header=BB0_70 Depth=1
	s_or_b32 exec_lo, exec_lo, s20
	s_trap 2
	ds_load_b64 v[10:11], v0
	s_wait_dscnt 0x0
	v_add_nc_u64_e32 v[36:37], v[36:37], v[66:67]
	s_mov_b32 s20, exec_lo
	s_delay_alu instid0(VALU_DEP_1)
	v_cmpx_lt_u64_e64 v[10:11], v[36:37]
	s_cbranch_execz .LBB0_322
; %bb.314:                              ;   in Loop: Header=BB0_70 Depth=1
	s_mov_b32 s21, 0
	s_mov_b32 s24, 0
                                        ; implicit-def: $sgpr22
                                        ; implicit-def: $sgpr23
	s_branch .LBB0_316
.LBB0_315:                              ;   in Loop: Header=BB0_316 Depth=2
	s_or_b32 exec_lo, exec_lo, s26
	s_delay_alu instid0(SALU_CYCLE_1) | instskip(NEXT) | instid1(SALU_CYCLE_1)
	s_and_b32 s25, exec_lo, s27
	s_or_b32 s21, s25, s21
	s_and_not1_b32 s22, s22, exec_lo
	s_and_b32 s25, s23, exec_lo
	s_delay_alu instid0(SALU_CYCLE_1)
	s_or_b32 s22, s22, s25
	s_and_not1_b32 exec_lo, exec_lo, s21
	s_cbranch_execz .LBB0_320
.LBB0_316:                              ;   Parent Loop BB0_70 Depth=1
                                        ; =>  This Inner Loop Header: Depth=2
	s_add_co_i32 s24, s24, 1
	s_delay_alu instid0(SALU_CYCLE_1) | instskip(SKIP_1) | instid1(SALU_CYCLE_1)
	s_cmp_lg_u32 s24, 0x2710
	s_cselect_b32 s25, -1, 0
	s_and_b32 vcc_lo, exec_lo, s25
	s_cbranch_vccz .LBB0_318
; %bb.317:                              ;   in Loop: Header=BB0_316 Depth=2
	s_mov_b32 s27, -1
	s_or_b32 s23, s23, exec_lo
	s_and_saveexec_b32 s26, s25
	s_cbranch_execz .LBB0_315
	s_branch .LBB0_319
.LBB0_318:                              ;   in Loop: Header=BB0_316 Depth=2
	s_trap 2
	ds_load_b64 v[10:11], v0
	s_and_not1_b32 s25, s25, exec_lo
	s_mov_b32 s24, 0
	s_wait_loadcnt_dscnt 0x0
	flat_load_b32 v10, v[10:11] scope:SCOPE_SYS
	s_wait_loadcnt_dscnt 0x0
	global_inv scope:SCOPE_SYS
	v_cmp_eq_u32_e32 vcc_lo, 0, v10
	s_and_b32 s26, vcc_lo, exec_lo
	s_delay_alu instid0(SALU_CYCLE_1)
	s_or_b32 s25, s25, s26
	s_mov_b32 s27, -1
	s_or_b32 s23, s23, exec_lo
	s_and_saveexec_b32 s26, s25
	s_cbranch_execz .LBB0_315
.LBB0_319:                              ;   in Loop: Header=BB0_316 Depth=2
	s_sleep 1
	s_trap 2
	ds_load_b64 v[10:11], v0
	s_wait_dscnt 0x0
	s_and_not1_b32 s23, s23, exec_lo
	v_cmp_ge_u64_e32 vcc_lo, v[10:11], v[36:37]
	s_or_not1_b32 s27, vcc_lo, exec_lo
	s_branch .LBB0_315
.LBB0_320:                              ;   in Loop: Header=BB0_70 Depth=1
	s_or_b32 exec_lo, exec_lo, s21
	s_and_saveexec_b32 s21, s22
	s_delay_alu instid0(SALU_CYCLE_1)
	s_xor_b32 s21, exec_lo, s21
	s_cbranch_execz .LBB0_322
; %bb.321:                              ;   in Loop: Header=BB0_70 Depth=1
	ds_store_b32 v0, v115
	s_trap 2
.LBB0_322:                              ;   in Loop: Header=BB0_70 Depth=1
	s_or_b32 exec_lo, exec_lo, s20
	;;#ASMSTART
	s_wakeup
	;;#ASMEND
.LBB0_323:                              ;   in Loop: Header=BB0_70 Depth=1
	s_or_b32 exec_lo, exec_lo, s19
.LBB0_324:                              ;   in Loop: Header=BB0_70 Depth=1
	s_and_not1_saveexec_b32 s18, s18
	s_cbranch_execz .LBB0_326
; %bb.325:                              ;   in Loop: Header=BB0_70 Depth=1
	global_wb scope:SCOPE_DEV
	s_wait_storecnt 0x0
	s_wait_loadcnt_dscnt 0x0
	global_inv scope:SCOPE_DEV
	s_barrier_signal -1
	s_barrier_wait -1
.LBB0_326:                              ;   in Loop: Header=BB0_70 Depth=1
	s_or_b32 exec_lo, exec_lo, s18
.LBB0_327:                              ;   in Loop: Header=BB0_70 Depth=1
	s_delay_alu instid0(SALU_CYCLE_1) | instskip(SKIP_3) | instid1(VALU_DEP_2)
	s_or_b32 exec_lo, exec_lo, s9
	v_dual_mov_b32 v96, v0 :: v_dual_sub_nc_u32 v97, v1, v54
	v_dual_add_nc_u32 v11, 1, v26 :: v_dual_bitop2_b32 v1, 7, v26 bitop3:0x40
	s_mov_b32 s9, exec_lo
	v_cmpx_lt_i32_e32 0, v97
	s_cbranch_execz .LBB0_335
; %bb.328:                              ;   in Loop: Header=BB0_70 Depth=1
	s_delay_alu instid0(VALU_DEP_2) | instskip(SKIP_3) | instid1(VALU_DEP_3)
	v_mul_lo_u32 v12, v1, s14
	v_mov_b64_e32 v[98:99], v[80:81]
	v_mov_b32_e32 v96, v0
	s_mov_b32 s18, 0
	v_dual_mov_b32 v102, v3 :: v_dual_ashrrev_i32 v13, 31, v12
	s_delay_alu instid0(VALU_DEP_1)
	v_lshl_add_u64 v[100:101], v[12:13], 4, v[86:87]
	s_branch .LBB0_330
.LBB0_329:                              ;   in Loop: Header=BB0_330 Depth=2
	s_wait_xcnt 0x0
	s_or_b32 exec_lo, exec_lo, s19
	s_wait_loadcnt 0x0
	v_alignbit_b32 v10, v112, v10, v102
	v_alignbit_b32 v12, v103, v112, v102
	v_dual_mov_b32 v13, v11 :: v_dual_sub_nc_u32 v97, v97, v68
	v_add_nc_u64_e32 v[98:99], v[98:99], v[68:69]
	v_add_nc_u32_e32 v96, v96, v2
	v_add_nc_u32_e32 v102, v102, v114
	global_store_b128 v[100:101], v[10:13], off
	v_cmp_gt_i32_e32 vcc_lo, 1, v97
	s_wait_xcnt 0x0
	v_add_nc_u64_e32 v[100:101], v[100:101], v[82:83]
	s_or_b32 s18, vcc_lo, s18
	s_delay_alu instid0(SALU_CYCLE_1)
	s_and_not1_b32 exec_lo, exec_lo, s18
	s_cbranch_execz .LBB0_334
.LBB0_330:                              ;   Parent Loop BB0_70 Depth=1
                                        ; =>  This Inner Loop Header: Depth=2
	s_delay_alu instid0(VALU_DEP_4)
	v_dual_mov_b32 v13, v99 :: v_dual_bitop2_b32 v12, -4, v98 bitop3:0x40
	v_min_u32_e32 v48, 8, v97
	v_dual_mov_b32 v112, 0 :: v_dual_bitop2_b32 v103, 3, v98 bitop3:0x40
	s_mov_b32 s19, exec_lo
	global_load_b32 v10, v[12:13], off th:TH_LOAD_NT
	v_dual_mov_b32 v103, 0 :: v_dual_add_nc_u32 v48, v103, v48
	s_wait_xcnt 0x0
	s_delay_alu instid0(VALU_DEP_1)
	v_cmpx_lt_u32_e32 4, v48
	s_cbranch_execz .LBB0_332
; %bb.331:                              ;   in Loop: Header=BB0_330 Depth=2
	global_load_b32 v112, v[12:13], off offset:4 th:TH_LOAD_NT
.LBB0_332:                              ;   in Loop: Header=BB0_330 Depth=2
	s_wait_xcnt 0x0
	s_or_b32 exec_lo, exec_lo, s19
	s_delay_alu instid0(SALU_CYCLE_1)
	s_mov_b32 s19, exec_lo
	v_cmpx_lt_u64_e32 8, v[48:49]
	s_cbranch_execz .LBB0_329
; %bb.333:                              ;   in Loop: Header=BB0_330 Depth=2
	global_load_b32 v103, v[12:13], off offset:8 th:TH_LOAD_NT
	s_branch .LBB0_329
.LBB0_334:                              ;   in Loop: Header=BB0_70 Depth=1
	s_or_b32 exec_lo, exec_lo, s18
.LBB0_335:                              ;   in Loop: Header=BB0_70 Depth=1
	s_delay_alu instid0(SALU_CYCLE_1) | instskip(SKIP_2) | instid1(VALU_DEP_2)
	s_or_b32 exec_lo, exec_lo, s9
	v_and_b32_e32 v48, 0x7ffffff8, v26
	v_cmp_gt_i32_e64 s9, s14, v96
	v_cmp_eq_u64_e32 vcc_lo, 0x7ffffff8, v[48:49]
	s_and_b32 s18, vcc_lo, s9
	s_delay_alu instid0(SALU_CYCLE_1)
	s_and_saveexec_b32 s9, s18
	s_cbranch_execz .LBB0_67
; %bb.336:                              ;   in Loop: Header=BB0_70 Depth=1
	v_mul_lo_u32 v12, v1, s14
	v_ashrrev_i32_e32 v97, 31, v96
	s_mov_b32 s18, 0
	s_delay_alu instid0(VALU_DEP_2) | instskip(NEXT) | instid1(VALU_DEP_1)
	v_dual_mov_b32 v10, v49 :: v_dual_ashrrev_i32 v13, 31, v12
	v_lshlrev_b64_e32 v[12:13], 4, v[12:13]
	s_delay_alu instid0(VALU_DEP_1) | instskip(NEXT) | instid1(VALU_DEP_1)
	v_lshl_add_u64 v[12:13], v[96:97], 4, v[12:13]
	v_add_nc_u64_e32 v[98:99], v[24:25], v[12:13]
.LBB0_337:                              ;   Parent Loop BB0_70 Depth=1
                                        ; =>  This Inner Loop Header: Depth=2
	s_delay_alu instid0(VALU_DEP_4) | instskip(SKIP_1) | instid1(VALU_DEP_2)
	v_dual_mov_b32 v12, v10 :: v_dual_add_nc_u32 v96, v96, v2
	v_mov_b32_e32 v13, v11
	v_cmp_le_i32_e32 vcc_lo, s14, v96
	global_store_b128 v[98:99], v[10:13], off
	s_wait_xcnt 0x0
	v_add_nc_u64_e32 v[98:99], v[98:99], v[82:83]
	s_or_b32 s18, vcc_lo, s18
	s_delay_alu instid0(SALU_CYCLE_1)
	s_and_not1_b32 exec_lo, exec_lo, s18
	s_cbranch_execnz .LBB0_337
	s_branch .LBB0_67
.LBB0_338:
	s_or_b32 exec_lo, exec_lo, s10
	s_delay_alu instid0(SALU_CYCLE_1)
	s_or_b32 exec_lo, exec_lo, s13
	s_and_saveexec_b32 s1, s12
	s_cbranch_execz .LBB0_52
.LBB0_339:
	s_wait_dscnt 0x0
	flat_store_b64 v[18:19], v[28:29] offset:104
	s_wait_xcnt 0x0
	s_or_b32 exec_lo, exec_lo, s1
	s_and_saveexec_b32 s1, s0
	s_cbranch_execnz .LBB0_53
	s_branch .LBB0_54
.LBB0_340:
	s_or_b32 exec_lo, exec_lo, s4
	s_and_saveexec_b32 s4, s5
	s_delay_alu instid0(SALU_CYCLE_1)
	s_xor_b32 s4, exec_lo, s4
	s_cbranch_execz .LBB0_342
; %bb.341:
	v_mov_b32_e32 v0, 1
	ds_store_b32 v0, v0
	s_trap 2
.LBB0_342:
	s_or_b32 exec_lo, exec_lo, s3
	;;#ASMSTART
	s_wakeup
	;;#ASMEND
.LBB0_343:
	s_or_b32 exec_lo, exec_lo, s2
.LBB0_344:
	s_and_not1_saveexec_b32 s1, s1
	s_cbranch_execz .LBB0_346
; %bb.345:
	global_wb scope:SCOPE_DEV
	s_wait_storecnt 0x0
	s_wait_loadcnt_dscnt 0x0
	global_inv scope:SCOPE_DEV
	s_barrier_signal -1
	s_barrier_wait -1
.LBB0_346:
	s_or_b32 exec_lo, exec_lo, s0
	s_delay_alu instid0(SALU_CYCLE_1)
	s_or_b32 exec_lo, exec_lo, s11
	s_wait_loadcnt_dscnt 0x0
	s_set_pc_i64 s[30:31]
.Lfunc_end0:
	.size	_ZN12_GLOBAL__N_17runRingIa7FuncSumIaE7ProtoLLLi0ELi1ELi0EEEviiP15ncclDevWorkColl, .Lfunc_end0-_ZN12_GLOBAL__N_17runRingIa7FuncSumIaE7ProtoLLLi0ELi1ELi0EEEviiP15ncclDevWorkColl
                                        ; -- End function
	.set .L_ZN12_GLOBAL__N_17runRingIa7FuncSumIaE7ProtoLLLi0ELi1ELi0EEEviiP15ncclDevWorkColl.num_vgpr, 120
	.set .L_ZN12_GLOBAL__N_17runRingIa7FuncSumIaE7ProtoLLLi0ELi1ELi0EEEviiP15ncclDevWorkColl.num_agpr, 0
	.set .L_ZN12_GLOBAL__N_17runRingIa7FuncSumIaE7ProtoLLLi0ELi1ELi0EEEviiP15ncclDevWorkColl.numbered_sgpr, 32
	.set .L_ZN12_GLOBAL__N_17runRingIa7FuncSumIaE7ProtoLLLi0ELi1ELi0EEEviiP15ncclDevWorkColl.num_named_barrier, 0
	.set .L_ZN12_GLOBAL__N_17runRingIa7FuncSumIaE7ProtoLLLi0ELi1ELi0EEEviiP15ncclDevWorkColl.private_seg_size, 0
	.set .L_ZN12_GLOBAL__N_17runRingIa7FuncSumIaE7ProtoLLLi0ELi1ELi0EEEviiP15ncclDevWorkColl.uses_vcc, 1
	.set .L_ZN12_GLOBAL__N_17runRingIa7FuncSumIaE7ProtoLLLi0ELi1ELi0EEEviiP15ncclDevWorkColl.uses_flat_scratch, 1
	.set .L_ZN12_GLOBAL__N_17runRingIa7FuncSumIaE7ProtoLLLi0ELi1ELi0EEEviiP15ncclDevWorkColl.has_dyn_sized_stack, 0
	.set .L_ZN12_GLOBAL__N_17runRingIa7FuncSumIaE7ProtoLLLi0ELi1ELi0EEEviiP15ncclDevWorkColl.has_recursion, 0
	.set .L_ZN12_GLOBAL__N_17runRingIa7FuncSumIaE7ProtoLLLi0ELi1ELi0EEEviiP15ncclDevWorkColl.has_indirect_call, 0
	.section	.AMDGPU.csdata,"",@progbits
; Function info:
; codeLenInByte = 11352
; TotalNumSgprs: 34
; NumVgprs: 120
; ScratchSize: 0
; MemoryBound: 1
	.text
	.p2align	2                               ; -- Begin function _Z42ncclDevFunc_Broadcast_RING_LL_Sum_i8_0_0_1v
	.type	_Z42ncclDevFunc_Broadcast_RING_LL_Sum_i8_0_0_1v,@function
_Z42ncclDevFunc_Broadcast_RING_LL_Sum_i8_0_0_1v: ; @_Z42ncclDevFunc_Broadcast_RING_LL_Sum_i8_0_0_1v
; %bb.0:
	s_wait_loadcnt_dscnt 0x0
	s_wait_kmcnt 0x0
	s_mov_b32 s47, s33
	s_mov_b32 s33, s32
	s_or_saveexec_b32 s0, -1
	scratch_store_b32 off, v42, s33 offset:8 ; 4-byte Folded Spill
	s_wait_xcnt 0x0
	s_mov_b32 exec_lo, s0
	s_add_co_i32 s32, s32, 16
	s_clause 0x1
	scratch_store_b32 off, v40, s33 offset:4
	; meta instruction
	scratch_store_b32 off, v41, s33
	v_writelane_b32 v42, s30, 0
	v_writelane_b32 v42, s31, 1
	s_trap 2
	ds_load_b32 v0, v0
	s_wait_xcnt 0x1
	v_mov_b32_e32 v40, v31
	s_wait_dscnt 0x0
	v_cmp_gt_i32_e32 vcc_lo, 1, v0
	s_cbranch_vccnz .LBB1_8
; %bb.1:
	s_wait_xcnt 0x0
	v_and_b32_e32 v41, 0x3ff, v40
	s_mov_b32 s42, s12
	s_mov_b64 s[40:41], s[8:9]
	s_mov_b32 s43, 0
	s_get_pc_i64 s[44:45]
	s_add_nc_u64 s[44:45], s[44:45], _ZN12_GLOBAL__N_17runRingIa7FuncSumIaE7ProtoLLLi0ELi1ELi0EEEviiP15ncclDevWorkColl@rel64+4
	s_branch .LBB1_3
.LBB1_2:                                ;   in Loop: Header=BB1_3 Depth=1
	s_or_b32 exec_lo, exec_lo, s46
	s_trap 2
	ds_load_b32 v0, v0
	s_add_co_i32 s43, s43, 1
	s_wait_dscnt 0x0
	v_cmp_lt_i32_e32 vcc_lo, s43, v0
	s_cbranch_vccz .LBB1_8
.LBB1_3:                                ; =>This Inner Loop Header: Depth=1
	s_trap 2
	ds_load_b32 v0, v0
	s_cmp_eq_u32 s43, 0
	s_cbranch_scc1 .LBB1_6
; %bb.4:                                ;   in Loop: Header=BB1_3 Depth=1
	s_trap 2
	s_wait_dscnt 0x0
	ds_load_b32 v1, v0
	s_wait_dscnt 0x0
	v_xor_b32_e32 v1, v1, v0
	s_delay_alu instid0(VALU_DEP_1) | instskip(NEXT) | instid1(VALU_DEP_1)
	v_and_b32_e32 v1, 0xff0000, v1
	v_cmp_eq_u32_e32 vcc_lo, 0, v1
	s_cbranch_vccnz .LBB1_6
; %bb.5:                                ;   in Loop: Header=BB1_3 Depth=1
	s_wait_storecnt 0x0
	s_barrier_signal -1
	s_barrier_wait -1
	ds_load_b32 v0, v0
.LBB1_6:                                ;   in Loop: Header=BB1_3 Depth=1
	s_wait_dscnt 0x0
	v_lshrrev_b32_e32 v0, 11, v0
	s_mov_b32 s46, exec_lo
	s_delay_alu instid0(VALU_DEP_1) | instskip(NEXT) | instid1(VALU_DEP_1)
	v_and_b32_e32 v1, 0x1fe0, v0
	v_cmpx_lt_u32_e64 v41, v1
	s_cbranch_execz .LBB1_2
; %bb.7:                                ;   in Loop: Header=BB1_3 Depth=1
	s_mov_b64 s[0:1], src_shared_base
	v_dual_mov_b32 v31, v40 :: v_dual_mov_b32 v0, v41
	v_mov_b32_e32 v3, s1
	s_mov_b64 s[8:9], s[40:41]
	s_mov_b32 s12, s42
	s_swap_pc_i64 s[30:31], s[44:45]
	s_branch .LBB1_2
.LBB1_8:
	s_clause 0x1
	scratch_load_b32 v41, off, s33
	scratch_load_b32 v40, off, s33 offset:4
	v_readlane_b32 s30, v42, 0
	v_readlane_b32 s31, v42, 1
	s_mov_b32 s32, s33
	s_wait_xcnt 0x0
	s_or_saveexec_b32 s0, -1
	scratch_load_b32 v42, off, s33 offset:8 ; 4-byte Folded Reload
	s_wait_xcnt 0x0
	s_mov_b32 exec_lo, s0
	s_mov_b32 s33, s47
	s_wait_loadcnt 0x0
	s_set_pc_i64 s[30:31]
.Lfunc_end1:
	.size	_Z42ncclDevFunc_Broadcast_RING_LL_Sum_i8_0_0_1v, .Lfunc_end1-_Z42ncclDevFunc_Broadcast_RING_LL_Sum_i8_0_0_1v
                                        ; -- End function
	.set .L_Z42ncclDevFunc_Broadcast_RING_LL_Sum_i8_0_0_1v.num_vgpr, max(43, .L_ZN12_GLOBAL__N_17runRingIa7FuncSumIaE7ProtoLLLi0ELi1ELi0EEEviiP15ncclDevWorkColl.num_vgpr)
	.set .L_Z42ncclDevFunc_Broadcast_RING_LL_Sum_i8_0_0_1v.num_agpr, max(0, .L_ZN12_GLOBAL__N_17runRingIa7FuncSumIaE7ProtoLLLi0ELi1ELi0EEEviiP15ncclDevWorkColl.num_agpr)
	.set .L_Z42ncclDevFunc_Broadcast_RING_LL_Sum_i8_0_0_1v.numbered_sgpr, max(48, .L_ZN12_GLOBAL__N_17runRingIa7FuncSumIaE7ProtoLLLi0ELi1ELi0EEEviiP15ncclDevWorkColl.numbered_sgpr)
	.set .L_Z42ncclDevFunc_Broadcast_RING_LL_Sum_i8_0_0_1v.num_named_barrier, max(0, .L_ZN12_GLOBAL__N_17runRingIa7FuncSumIaE7ProtoLLLi0ELi1ELi0EEEviiP15ncclDevWorkColl.num_named_barrier)
	.set .L_Z42ncclDevFunc_Broadcast_RING_LL_Sum_i8_0_0_1v.private_seg_size, 16+max(.L_ZN12_GLOBAL__N_17runRingIa7FuncSumIaE7ProtoLLLi0ELi1ELi0EEEviiP15ncclDevWorkColl.private_seg_size)
	.set .L_Z42ncclDevFunc_Broadcast_RING_LL_Sum_i8_0_0_1v.uses_vcc, or(1, .L_ZN12_GLOBAL__N_17runRingIa7FuncSumIaE7ProtoLLLi0ELi1ELi0EEEviiP15ncclDevWorkColl.uses_vcc)
	.set .L_Z42ncclDevFunc_Broadcast_RING_LL_Sum_i8_0_0_1v.uses_flat_scratch, or(1, .L_ZN12_GLOBAL__N_17runRingIa7FuncSumIaE7ProtoLLLi0ELi1ELi0EEEviiP15ncclDevWorkColl.uses_flat_scratch)
	.set .L_Z42ncclDevFunc_Broadcast_RING_LL_Sum_i8_0_0_1v.has_dyn_sized_stack, or(0, .L_ZN12_GLOBAL__N_17runRingIa7FuncSumIaE7ProtoLLLi0ELi1ELi0EEEviiP15ncclDevWorkColl.has_dyn_sized_stack)
	.set .L_Z42ncclDevFunc_Broadcast_RING_LL_Sum_i8_0_0_1v.has_recursion, or(1, .L_ZN12_GLOBAL__N_17runRingIa7FuncSumIaE7ProtoLLLi0ELi1ELi0EEEviiP15ncclDevWorkColl.has_recursion)
	.set .L_Z42ncclDevFunc_Broadcast_RING_LL_Sum_i8_0_0_1v.has_indirect_call, or(0, .L_ZN12_GLOBAL__N_17runRingIa7FuncSumIaE7ProtoLLLi0ELi1ELi0EEEviiP15ncclDevWorkColl.has_indirect_call)
	.section	.AMDGPU.csdata,"",@progbits
; Function info:
; codeLenInByte = 436
; TotalNumSgprs: 50
; NumVgprs: 120
; ScratchSize: 16
; MemoryBound: 0
	.text
	.p2align	2                               ; -- Begin function __ockl_fprintf_append_string_n
	.type	__ockl_fprintf_append_string_n,@function
__ockl_fprintf_append_string_n:         ; @__ockl_fprintf_append_string_n
; %bb.0:
	s_wait_loadcnt_dscnt 0x0
	s_wait_kmcnt 0x0
	v_or_b32_e32 v2, 2, v0
	v_cmp_eq_u32_e32 vcc_lo, 0, v6
	v_mbcnt_lo_u32_b32 v30, -1, 0
	s_get_pc_i64 s[0:1]
	s_add_nc_u64 s[0:1], s[0:1], .str.4@rel64+4
	s_mov_b32 s6, 0
	s_cmp_lg_u64 s[0:1], 0
	v_cndmask_b32_e32 v3, v2, v0, vcc_lo
	s_cbranch_scc0 .LBB2_113
; %bb.1:
	s_load_b64 s[2:3], s[8:9], 0x50
	s_delay_alu instid0(VALU_DEP_1) | instskip(SKIP_3) | instid1(VALU_DEP_4)
	v_dual_mov_b32 v7, 0 :: v_dual_bitop2_b32 v0, -3, v3 bitop3:0x40
	v_mov_b64_e32 v[8:9], 0x100000002
	v_mov_b64_e32 v[32:33], s[0:1]
	v_and_b32_e32 v2, 2, v3
	v_mov_b64_e32 v[10:11], v[0:1]
	s_mov_b32 s7, 0
	s_branch .LBB2_3
.LBB2_2:                                ;   in Loop: Header=BB2_3 Depth=1
	s_or_b32 exec_lo, exec_lo, s10
	v_sub_nc_u64_e32 v[4:5], v[4:5], v[34:35]
	v_add_nc_u64_e32 v[32:33], v[32:33], v[34:35]
	s_delay_alu instid0(VALU_DEP_2) | instskip(SKIP_1) | instid1(SALU_CYCLE_1)
	v_cmp_eq_u64_e32 vcc_lo, 0, v[4:5]
	s_or_b32 s7, vcc_lo, s7
	s_and_not1_b32 exec_lo, exec_lo, s7
	s_cbranch_execz .LBB2_85
.LBB2_3:                                ; =>This Loop Header: Depth=1
                                        ;     Child Loop BB2_6 Depth 2
                                        ;     Child Loop BB2_14 Depth 2
	;; [unrolled: 1-line block ×11, first 2 shown]
	v_min_u64 v[34:35], v[4:5], 56
	s_delay_alu instid0(VALU_DEP_3)
	v_add_nc_u64_e32 v[16:17], 8, v[32:33]
	s_mov_b32 s0, exec_lo
	v_cmpx_gt_u64_e32 8, v[4:5]
	s_xor_b32 s4, exec_lo, s0
	s_cbranch_execz .LBB2_9
; %bb.4:                                ;   in Loop: Header=BB2_3 Depth=1
	s_wait_loadcnt 0x0
	v_mov_b64_e32 v[12:13], 0
	s_mov_b32 s5, exec_lo
	v_cmpx_ne_u64_e32 0, v[4:5]
	s_cbranch_execz .LBB2_8
; %bb.5:                                ;   in Loop: Header=BB2_3 Depth=1
	v_mov_b64_e32 v[12:13], 0
	v_mov_b64_e32 v[14:15], v[32:33]
	v_lshlrev_b32_e32 v0, 3, v34
	s_mov_b64 s[0:1], 0
	s_mov_b32 s10, 0
.LBB2_6:                                ;   Parent Loop BB2_3 Depth=1
                                        ; =>  This Inner Loop Header: Depth=2
	global_load_u8 v6, v[14:15], off
	v_mov_b32_e32 v17, s6
	s_wait_xcnt 0x0
	v_add_nc_u64_e32 v[14:15], 1, v[14:15]
	s_wait_loadcnt 0x0
	v_and_b32_e32 v16, 0xffff, v6
	s_delay_alu instid0(VALU_DEP_1) | instskip(SKIP_1) | instid1(SALU_CYCLE_1)
	v_lshlrev_b64_e32 v[16:17], s0, v[16:17]
	s_add_nc_u64 s[0:1], s[0:1], 8
	v_cmp_eq_u32_e32 vcc_lo, s0, v0
	s_delay_alu instid0(VALU_DEP_2) | instskip(NEXT) | instid1(VALU_DEP_3)
	v_or_b32_e32 v13, v17, v13
	v_or_b32_e32 v12, v16, v12
	s_or_b32 s10, vcc_lo, s10
	s_delay_alu instid0(SALU_CYCLE_1)
	s_and_not1_b32 exec_lo, exec_lo, s10
	s_cbranch_execnz .LBB2_6
; %bb.7:                                ;   in Loop: Header=BB2_3 Depth=1
	s_or_b32 exec_lo, exec_lo, s10
.LBB2_8:                                ;   in Loop: Header=BB2_3 Depth=1
	s_delay_alu instid0(SALU_CYCLE_1)
	s_or_b32 exec_lo, exec_lo, s5
	v_mov_b64_e32 v[16:17], v[32:33]
.LBB2_9:                                ;   in Loop: Header=BB2_3 Depth=1
	s_or_saveexec_b32 s0, s4
	v_mov_b32_e32 v0, 0
	s_xor_b32 exec_lo, exec_lo, s0
	s_cbranch_execz .LBB2_11
; %bb.10:                               ;   in Loop: Header=BB2_3 Depth=1
	s_wait_loadcnt 0x0
	global_load_b64 v[12:13], v[32:33], off
	v_add_nc_u32_e32 v0, -8, v34
.LBB2_11:                               ;   in Loop: Header=BB2_3 Depth=1
	s_wait_xcnt 0x0
	s_or_b32 exec_lo, exec_lo, s0
	v_add_nc_u64_e32 v[18:19], 8, v[16:17]
                                        ; implicit-def: $vgpr14_vgpr15
	s_mov_b32 s0, exec_lo
	v_cmpx_gt_u32_e32 8, v0
	s_xor_b32 s10, exec_lo, s0
	s_cbranch_execz .LBB2_17
; %bb.12:                               ;   in Loop: Header=BB2_3 Depth=1
	v_mov_b64_e32 v[14:15], 0
	s_mov_b32 s11, exec_lo
	v_cmpx_ne_u32_e32 0, v0
	s_cbranch_execz .LBB2_16
; %bb.13:                               ;   in Loop: Header=BB2_3 Depth=1
	v_mov_b64_e32 v[14:15], 0
	s_mov_b64 s[0:1], 0
	s_mov_b32 s12, 0
	s_mov_b64 s[4:5], 0
.LBB2_14:                               ;   Parent Loop BB2_3 Depth=1
                                        ; =>  This Inner Loop Header: Depth=2
	s_delay_alu instid0(SALU_CYCLE_1) | instskip(SKIP_1) | instid1(SALU_CYCLE_1)
	v_add_nc_u64_e32 v[18:19], s[4:5], v[16:17]
	s_add_nc_u64 s[4:5], s[4:5], 1
	v_cmp_eq_u32_e32 vcc_lo, s4, v0
	global_load_u8 v6, v[18:19], off
	s_wait_xcnt 0x0
	v_mov_b32_e32 v19, s6
	s_or_b32 s12, vcc_lo, s12
	s_wait_loadcnt 0x0
	v_and_b32_e32 v18, 0xffff, v6
	s_delay_alu instid0(VALU_DEP_1) | instskip(SKIP_1) | instid1(VALU_DEP_1)
	v_lshlrev_b64_e32 v[18:19], s0, v[18:19]
	s_add_nc_u64 s[0:1], s[0:1], 8
	v_or_b32_e32 v15, v19, v15
	s_delay_alu instid0(VALU_DEP_2)
	v_or_b32_e32 v14, v18, v14
	s_and_not1_b32 exec_lo, exec_lo, s12
	s_cbranch_execnz .LBB2_14
; %bb.15:                               ;   in Loop: Header=BB2_3 Depth=1
	s_or_b32 exec_lo, exec_lo, s12
.LBB2_16:                               ;   in Loop: Header=BB2_3 Depth=1
	s_delay_alu instid0(SALU_CYCLE_1)
	s_or_b32 exec_lo, exec_lo, s11
	v_mov_b64_e32 v[18:19], v[16:17]
                                        ; implicit-def: $vgpr0
.LBB2_17:                               ;   in Loop: Header=BB2_3 Depth=1
	s_or_saveexec_b32 s0, s10
	v_mov_b32_e32 v6, 0
	s_xor_b32 exec_lo, exec_lo, s0
	s_cbranch_execz .LBB2_19
; %bb.18:                               ;   in Loop: Header=BB2_3 Depth=1
	global_load_b64 v[14:15], v[16:17], off
	v_add_nc_u32_e32 v6, -8, v0
.LBB2_19:                               ;   in Loop: Header=BB2_3 Depth=1
	s_wait_xcnt 0x0
	s_or_b32 exec_lo, exec_lo, s0
	v_add_nc_u64_e32 v[20:21], 8, v[18:19]
	s_mov_b32 s0, exec_lo
	v_cmpx_gt_u32_e32 8, v6
	s_xor_b32 s10, exec_lo, s0
	s_cbranch_execz .LBB2_25
; %bb.20:                               ;   in Loop: Header=BB2_3 Depth=1
	v_mov_b64_e32 v[16:17], 0
	s_mov_b32 s11, exec_lo
	v_cmpx_ne_u32_e32 0, v6
	s_cbranch_execz .LBB2_24
; %bb.21:                               ;   in Loop: Header=BB2_3 Depth=1
	v_mov_b64_e32 v[16:17], 0
	s_mov_b64 s[0:1], 0
	s_mov_b32 s12, 0
	s_mov_b64 s[4:5], 0
.LBB2_22:                               ;   Parent Loop BB2_3 Depth=1
                                        ; =>  This Inner Loop Header: Depth=2
	s_delay_alu instid0(SALU_CYCLE_1) | instskip(SKIP_1) | instid1(SALU_CYCLE_1)
	v_add_nc_u64_e32 v[20:21], s[4:5], v[18:19]
	s_add_nc_u64 s[4:5], s[4:5], 1
	v_cmp_eq_u32_e32 vcc_lo, s4, v6
	global_load_u8 v0, v[20:21], off
	s_wait_xcnt 0x0
	v_mov_b32_e32 v21, s6
	s_or_b32 s12, vcc_lo, s12
	s_wait_loadcnt 0x0
	v_and_b32_e32 v20, 0xffff, v0
	s_delay_alu instid0(VALU_DEP_1) | instskip(SKIP_1) | instid1(VALU_DEP_1)
	v_lshlrev_b64_e32 v[20:21], s0, v[20:21]
	s_add_nc_u64 s[0:1], s[0:1], 8
	v_or_b32_e32 v17, v21, v17
	s_delay_alu instid0(VALU_DEP_2)
	v_or_b32_e32 v16, v20, v16
	s_and_not1_b32 exec_lo, exec_lo, s12
	s_cbranch_execnz .LBB2_22
; %bb.23:                               ;   in Loop: Header=BB2_3 Depth=1
	s_or_b32 exec_lo, exec_lo, s12
.LBB2_24:                               ;   in Loop: Header=BB2_3 Depth=1
	s_delay_alu instid0(SALU_CYCLE_1)
	s_or_b32 exec_lo, exec_lo, s11
	v_mov_b64_e32 v[20:21], v[18:19]
                                        ; implicit-def: $vgpr6
.LBB2_25:                               ;   in Loop: Header=BB2_3 Depth=1
	s_or_saveexec_b32 s0, s10
	v_mov_b32_e32 v0, 0
	s_xor_b32 exec_lo, exec_lo, s0
	s_cbranch_execz .LBB2_27
; %bb.26:                               ;   in Loop: Header=BB2_3 Depth=1
	global_load_b64 v[16:17], v[18:19], off
	v_add_nc_u32_e32 v0, -8, v6
.LBB2_27:                               ;   in Loop: Header=BB2_3 Depth=1
	s_wait_xcnt 0x0
	s_or_b32 exec_lo, exec_lo, s0
	v_add_nc_u64_e32 v[22:23], 8, v[20:21]
                                        ; implicit-def: $vgpr18_vgpr19
	s_mov_b32 s0, exec_lo
	v_cmpx_gt_u32_e32 8, v0
	s_xor_b32 s10, exec_lo, s0
	s_cbranch_execz .LBB2_33
; %bb.28:                               ;   in Loop: Header=BB2_3 Depth=1
	v_mov_b64_e32 v[18:19], 0
	s_mov_b32 s11, exec_lo
	v_cmpx_ne_u32_e32 0, v0
	s_cbranch_execz .LBB2_32
; %bb.29:                               ;   in Loop: Header=BB2_3 Depth=1
	v_mov_b64_e32 v[18:19], 0
	s_mov_b64 s[0:1], 0
	s_mov_b32 s12, 0
	s_mov_b64 s[4:5], 0
.LBB2_30:                               ;   Parent Loop BB2_3 Depth=1
                                        ; =>  This Inner Loop Header: Depth=2
	s_delay_alu instid0(SALU_CYCLE_1) | instskip(SKIP_1) | instid1(SALU_CYCLE_1)
	v_add_nc_u64_e32 v[22:23], s[4:5], v[20:21]
	s_add_nc_u64 s[4:5], s[4:5], 1
	v_cmp_eq_u32_e32 vcc_lo, s4, v0
	global_load_u8 v6, v[22:23], off
	s_wait_xcnt 0x0
	v_mov_b32_e32 v23, s6
	s_or_b32 s12, vcc_lo, s12
	s_wait_loadcnt 0x0
	v_and_b32_e32 v22, 0xffff, v6
	s_delay_alu instid0(VALU_DEP_1) | instskip(SKIP_1) | instid1(VALU_DEP_1)
	v_lshlrev_b64_e32 v[22:23], s0, v[22:23]
	s_add_nc_u64 s[0:1], s[0:1], 8
	v_or_b32_e32 v19, v23, v19
	s_delay_alu instid0(VALU_DEP_2)
	v_or_b32_e32 v18, v22, v18
	s_and_not1_b32 exec_lo, exec_lo, s12
	s_cbranch_execnz .LBB2_30
; %bb.31:                               ;   in Loop: Header=BB2_3 Depth=1
	s_or_b32 exec_lo, exec_lo, s12
.LBB2_32:                               ;   in Loop: Header=BB2_3 Depth=1
	s_delay_alu instid0(SALU_CYCLE_1)
	s_or_b32 exec_lo, exec_lo, s11
	v_mov_b64_e32 v[22:23], v[20:21]
                                        ; implicit-def: $vgpr0
.LBB2_33:                               ;   in Loop: Header=BB2_3 Depth=1
	s_or_saveexec_b32 s0, s10
	v_mov_b32_e32 v6, 0
	s_xor_b32 exec_lo, exec_lo, s0
	s_cbranch_execz .LBB2_35
; %bb.34:                               ;   in Loop: Header=BB2_3 Depth=1
	global_load_b64 v[18:19], v[20:21], off
	v_add_nc_u32_e32 v6, -8, v0
.LBB2_35:                               ;   in Loop: Header=BB2_3 Depth=1
	s_wait_xcnt 0x0
	s_or_b32 exec_lo, exec_lo, s0
	v_add_nc_u64_e32 v[24:25], 8, v[22:23]
	s_mov_b32 s0, exec_lo
	v_cmpx_gt_u32_e32 8, v6
	s_xor_b32 s10, exec_lo, s0
	s_cbranch_execz .LBB2_41
; %bb.36:                               ;   in Loop: Header=BB2_3 Depth=1
	v_mov_b64_e32 v[20:21], 0
	s_mov_b32 s11, exec_lo
	v_cmpx_ne_u32_e32 0, v6
	s_cbranch_execz .LBB2_40
; %bb.37:                               ;   in Loop: Header=BB2_3 Depth=1
	v_mov_b64_e32 v[20:21], 0
	s_mov_b64 s[0:1], 0
	s_mov_b32 s12, 0
	s_mov_b64 s[4:5], 0
.LBB2_38:                               ;   Parent Loop BB2_3 Depth=1
                                        ; =>  This Inner Loop Header: Depth=2
	s_delay_alu instid0(SALU_CYCLE_1) | instskip(SKIP_1) | instid1(SALU_CYCLE_1)
	v_add_nc_u64_e32 v[24:25], s[4:5], v[22:23]
	s_add_nc_u64 s[4:5], s[4:5], 1
	v_cmp_eq_u32_e32 vcc_lo, s4, v6
	global_load_u8 v0, v[24:25], off
	s_wait_xcnt 0x0
	v_mov_b32_e32 v25, s6
	s_or_b32 s12, vcc_lo, s12
	s_wait_loadcnt 0x0
	v_and_b32_e32 v24, 0xffff, v0
	s_delay_alu instid0(VALU_DEP_1) | instskip(SKIP_1) | instid1(VALU_DEP_1)
	v_lshlrev_b64_e32 v[24:25], s0, v[24:25]
	s_add_nc_u64 s[0:1], s[0:1], 8
	v_or_b32_e32 v21, v25, v21
	s_delay_alu instid0(VALU_DEP_2)
	v_or_b32_e32 v20, v24, v20
	s_and_not1_b32 exec_lo, exec_lo, s12
	s_cbranch_execnz .LBB2_38
; %bb.39:                               ;   in Loop: Header=BB2_3 Depth=1
	s_or_b32 exec_lo, exec_lo, s12
.LBB2_40:                               ;   in Loop: Header=BB2_3 Depth=1
	s_delay_alu instid0(SALU_CYCLE_1)
	s_or_b32 exec_lo, exec_lo, s11
	v_mov_b64_e32 v[24:25], v[22:23]
                                        ; implicit-def: $vgpr6
.LBB2_41:                               ;   in Loop: Header=BB2_3 Depth=1
	s_or_saveexec_b32 s0, s10
	v_mov_b32_e32 v0, 0
	s_xor_b32 exec_lo, exec_lo, s0
	s_cbranch_execz .LBB2_43
; %bb.42:                               ;   in Loop: Header=BB2_3 Depth=1
	global_load_b64 v[20:21], v[22:23], off
	v_add_nc_u32_e32 v0, -8, v6
.LBB2_43:                               ;   in Loop: Header=BB2_3 Depth=1
	s_wait_xcnt 0x0
	s_or_b32 exec_lo, exec_lo, s0
	v_add_nc_u64_e32 v[26:27], 8, v[24:25]
                                        ; implicit-def: $vgpr22_vgpr23
	s_mov_b32 s0, exec_lo
	v_cmpx_gt_u32_e32 8, v0
	s_xor_b32 s10, exec_lo, s0
	s_cbranch_execz .LBB2_49
; %bb.44:                               ;   in Loop: Header=BB2_3 Depth=1
	v_mov_b64_e32 v[22:23], 0
	s_mov_b32 s11, exec_lo
	v_cmpx_ne_u32_e32 0, v0
	s_cbranch_execz .LBB2_48
; %bb.45:                               ;   in Loop: Header=BB2_3 Depth=1
	v_mov_b64_e32 v[22:23], 0
	s_mov_b64 s[0:1], 0
	s_mov_b32 s12, 0
	s_mov_b64 s[4:5], 0
.LBB2_46:                               ;   Parent Loop BB2_3 Depth=1
                                        ; =>  This Inner Loop Header: Depth=2
	s_delay_alu instid0(SALU_CYCLE_1) | instskip(SKIP_1) | instid1(SALU_CYCLE_1)
	v_add_nc_u64_e32 v[26:27], s[4:5], v[24:25]
	s_add_nc_u64 s[4:5], s[4:5], 1
	v_cmp_eq_u32_e32 vcc_lo, s4, v0
	global_load_u8 v6, v[26:27], off
	s_wait_xcnt 0x0
	v_mov_b32_e32 v27, s6
	s_or_b32 s12, vcc_lo, s12
	s_wait_loadcnt 0x0
	v_and_b32_e32 v26, 0xffff, v6
	s_delay_alu instid0(VALU_DEP_1) | instskip(SKIP_1) | instid1(VALU_DEP_1)
	v_lshlrev_b64_e32 v[26:27], s0, v[26:27]
	s_add_nc_u64 s[0:1], s[0:1], 8
	v_or_b32_e32 v23, v27, v23
	s_delay_alu instid0(VALU_DEP_2)
	v_or_b32_e32 v22, v26, v22
	s_and_not1_b32 exec_lo, exec_lo, s12
	s_cbranch_execnz .LBB2_46
; %bb.47:                               ;   in Loop: Header=BB2_3 Depth=1
	s_or_b32 exec_lo, exec_lo, s12
.LBB2_48:                               ;   in Loop: Header=BB2_3 Depth=1
	s_delay_alu instid0(SALU_CYCLE_1)
	s_or_b32 exec_lo, exec_lo, s11
	v_mov_b64_e32 v[26:27], v[24:25]
                                        ; implicit-def: $vgpr0
.LBB2_49:                               ;   in Loop: Header=BB2_3 Depth=1
	s_or_saveexec_b32 s0, s10
	v_mov_b32_e32 v6, 0
	s_xor_b32 exec_lo, exec_lo, s0
	s_cbranch_execz .LBB2_51
; %bb.50:                               ;   in Loop: Header=BB2_3 Depth=1
	global_load_b64 v[22:23], v[24:25], off
	v_add_nc_u32_e32 v6, -8, v0
.LBB2_51:                               ;   in Loop: Header=BB2_3 Depth=1
	s_wait_xcnt 0x0
	s_or_b32 exec_lo, exec_lo, s0
	s_delay_alu instid0(SALU_CYCLE_1) | instskip(NEXT) | instid1(VALU_DEP_1)
	s_mov_b32 s0, exec_lo
	v_cmpx_gt_u32_e32 8, v6
	s_xor_b32 s4, exec_lo, s0
	s_cbranch_execz .LBB2_57
; %bb.52:                               ;   in Loop: Header=BB2_3 Depth=1
	v_mov_b64_e32 v[24:25], 0
	s_mov_b32 s5, exec_lo
	v_cmpx_ne_u32_e32 0, v6
	s_cbranch_execz .LBB2_56
; %bb.53:                               ;   in Loop: Header=BB2_3 Depth=1
	v_mov_b64_e32 v[24:25], 0
	s_mov_b64 s[0:1], 0
	s_mov_b32 s10, 0
.LBB2_54:                               ;   Parent Loop BB2_3 Depth=1
                                        ; =>  This Inner Loop Header: Depth=2
	global_load_u8 v0, v[26:27], off
	v_dual_mov_b32 v29, s6 :: v_dual_add_nc_u32 v6, -1, v6
	s_wait_xcnt 0x0
	v_add_nc_u64_e32 v[26:27], 1, v[26:27]
	s_delay_alu instid0(VALU_DEP_2) | instskip(SKIP_3) | instid1(VALU_DEP_1)
	v_cmp_eq_u32_e32 vcc_lo, 0, v6
	s_or_b32 s10, vcc_lo, s10
	s_wait_loadcnt 0x0
	v_and_b32_e32 v28, 0xffff, v0
	v_lshlrev_b64_e32 v[28:29], s0, v[28:29]
	s_add_nc_u64 s[0:1], s[0:1], 8
	s_delay_alu instid0(VALU_DEP_1) | instskip(NEXT) | instid1(VALU_DEP_2)
	v_or_b32_e32 v25, v29, v25
	v_or_b32_e32 v24, v28, v24
	s_and_not1_b32 exec_lo, exec_lo, s10
	s_cbranch_execnz .LBB2_54
; %bb.55:                               ;   in Loop: Header=BB2_3 Depth=1
	s_or_b32 exec_lo, exec_lo, s10
.LBB2_56:                               ;   in Loop: Header=BB2_3 Depth=1
	s_delay_alu instid0(SALU_CYCLE_1)
	s_or_b32 exec_lo, exec_lo, s5
                                        ; implicit-def: $vgpr26_vgpr27
.LBB2_57:                               ;   in Loop: Header=BB2_3 Depth=1
	s_and_not1_saveexec_b32 s0, s4
	s_cbranch_execz .LBB2_59
; %bb.58:                               ;   in Loop: Header=BB2_3 Depth=1
	global_load_b64 v[24:25], v[26:27], off
.LBB2_59:                               ;   in Loop: Header=BB2_3 Depth=1
	s_wait_xcnt 0x0
	s_or_b32 exec_lo, exec_lo, s0
	v_readfirstlane_b32 s0, v30
	v_mov_b64_e32 v[36:37], 0
	s_delay_alu instid0(VALU_DEP_2)
	v_cmp_eq_u32_e64 s0, s0, v30
	s_and_saveexec_b32 s1, s0
	s_cbranch_execz .LBB2_65
; %bb.60:                               ;   in Loop: Header=BB2_3 Depth=1
	s_wait_kmcnt 0x0
	global_load_b64 v[28:29], v7, s[2:3] offset:24 scope:SCOPE_SYS
	s_wait_loadcnt 0x0
	global_inv scope:SCOPE_SYS
	s_clause 0x1
	global_load_b64 v[26:27], v7, s[2:3] offset:40
	global_load_b64 v[36:37], v7, s[2:3]
	s_mov_b32 s4, exec_lo
	s_wait_loadcnt 0x1
	v_and_b32_e32 v26, v26, v28
	v_and_b32_e32 v27, v27, v29
	s_delay_alu instid0(VALU_DEP_1) | instskip(SKIP_1) | instid1(VALU_DEP_1)
	v_mul_u64_e32 v[26:27], 24, v[26:27]
	s_wait_loadcnt 0x0
	v_add_nc_u64_e32 v[26:27], v[36:37], v[26:27]
	global_load_b64 v[26:27], v[26:27], off scope:SCOPE_SYS
	s_wait_xcnt 0x0
	s_wait_loadcnt 0x0
	global_atomic_cmpswap_b64 v[36:37], v7, v[26:29], s[2:3] offset:24 th:TH_ATOMIC_RETURN scope:SCOPE_SYS
	s_wait_loadcnt 0x0
	global_inv scope:SCOPE_SYS
	s_wait_xcnt 0x0
	v_cmpx_ne_u64_e64 v[36:37], v[28:29]
	s_cbranch_execz .LBB2_64
; %bb.61:                               ;   in Loop: Header=BB2_3 Depth=1
	s_mov_b32 s5, 0
.LBB2_62:                               ;   Parent Loop BB2_3 Depth=1
                                        ; =>  This Inner Loop Header: Depth=2
	s_sleep 1
	s_clause 0x1
	global_load_b64 v[26:27], v7, s[2:3] offset:40
	global_load_b64 v[38:39], v7, s[2:3]
	v_mov_b64_e32 v[28:29], v[36:37]
	s_wait_loadcnt 0x1
	s_delay_alu instid0(VALU_DEP_1) | instskip(SKIP_1) | instid1(VALU_DEP_1)
	v_and_b32_e32 v0, v26, v28
	s_wait_loadcnt 0x0
	v_mad_nc_u64_u32 v[36:37], v0, 24, v[38:39]
	s_delay_alu instid0(VALU_DEP_3) | instskip(NEXT) | instid1(VALU_DEP_1)
	v_and_b32_e32 v0, v27, v29
	v_mad_u32 v37, v0, 24, v37
	global_load_b64 v[26:27], v[36:37], off scope:SCOPE_SYS
	s_wait_xcnt 0x0
	s_wait_loadcnt 0x0
	global_atomic_cmpswap_b64 v[36:37], v7, v[26:29], s[2:3] offset:24 th:TH_ATOMIC_RETURN scope:SCOPE_SYS
	s_wait_loadcnt 0x0
	global_inv scope:SCOPE_SYS
	v_cmp_eq_u64_e32 vcc_lo, v[36:37], v[28:29]
	s_or_b32 s5, vcc_lo, s5
	s_wait_xcnt 0x0
	s_and_not1_b32 exec_lo, exec_lo, s5
	s_cbranch_execnz .LBB2_62
; %bb.63:                               ;   in Loop: Header=BB2_3 Depth=1
	s_or_b32 exec_lo, exec_lo, s5
.LBB2_64:                               ;   in Loop: Header=BB2_3 Depth=1
	s_delay_alu instid0(SALU_CYCLE_1)
	s_or_b32 exec_lo, exec_lo, s4
.LBB2_65:                               ;   in Loop: Header=BB2_3 Depth=1
	s_delay_alu instid0(SALU_CYCLE_1)
	s_or_b32 exec_lo, exec_lo, s1
	s_wait_kmcnt 0x0
	s_clause 0x1
	global_load_b64 v[38:39], v7, s[2:3] offset:40
	global_load_b128 v[26:29], v7, s[2:3]
	v_readfirstlane_b32 s4, v36
	v_readfirstlane_b32 s5, v37
	s_mov_b32 s1, exec_lo
	s_wait_loadcnt 0x1
	v_and_b32_e32 v38, s4, v38
	v_and_b32_e32 v39, s5, v39
	s_delay_alu instid0(VALU_DEP_1) | instskip(SKIP_1) | instid1(VALU_DEP_1)
	v_mul_u64_e32 v[36:37], 24, v[38:39]
	s_wait_loadcnt 0x0
	v_add_nc_u64_e32 v[36:37], v[26:27], v[36:37]
	s_wait_xcnt 0x0
	s_and_saveexec_b32 s10, s0
	s_cbranch_execz .LBB2_67
; %bb.66:                               ;   in Loop: Header=BB2_3 Depth=1
	v_mov_b32_e32 v6, s1
	global_store_b128 v[36:37], v[6:9], off offset:8
.LBB2_67:                               ;   in Loop: Header=BB2_3 Depth=1
	s_wait_xcnt 0x0
	s_or_b32 exec_lo, exec_lo, s10
	v_cmp_gt_u64_e32 vcc_lo, 57, v[4:5]
	v_lshlrev_b64_e32 v[38:39], 12, v[38:39]
	v_and_b32_e32 v6, 0xffffff1f, v10
	v_lshl_add_u32 v10, v34, 2, 28
	v_cndmask_b32_e32 v0, 0, v2, vcc_lo
	s_delay_alu instid0(VALU_DEP_4) | instskip(NEXT) | instid1(VALU_DEP_2)
	v_add_nc_u64_e32 v[28:29], v[28:29], v[38:39]
	v_dual_lshlrev_b32 v6, 6, v30 :: v_dual_bitop2_b32 v0, v6, v0 bitop3:0x54
	s_delay_alu instid0(VALU_DEP_2) | instskip(NEXT) | instid1(VALU_DEP_3)
	v_readfirstlane_b32 s10, v28
	v_readfirstlane_b32 s11, v29
	s_delay_alu instid0(VALU_DEP_3)
	v_and_or_b32 v10, 0x1e0, v10, v0
	s_clause 0x3
	global_store_b128 v6, v[10:13], s[10:11]
	global_store_b128 v6, v[14:17], s[10:11] offset:16
	global_store_b128 v6, v[18:21], s[10:11] offset:32
	;; [unrolled: 1-line block ×3, first 2 shown]
	s_wait_xcnt 0x0
	s_and_saveexec_b32 s1, s0
	s_cbranch_execz .LBB2_75
; %bb.68:                               ;   in Loop: Header=BB2_3 Depth=1
	s_clause 0x1
	global_load_b64 v[18:19], v7, s[2:3] offset:32 scope:SCOPE_SYS
	global_load_b64 v[10:11], v7, s[2:3] offset:40
	s_mov_b32 s10, exec_lo
	v_dual_mov_b32 v16, s4 :: v_dual_mov_b32 v17, s5
	s_wait_loadcnt 0x0
	v_and_b32_e32 v11, s5, v11
	v_and_b32_e32 v10, s4, v10
	s_delay_alu instid0(VALU_DEP_1) | instskip(NEXT) | instid1(VALU_DEP_1)
	v_mul_u64_e32 v[10:11], 24, v[10:11]
	v_add_nc_u64_e32 v[14:15], v[26:27], v[10:11]
	global_store_b64 v[14:15], v[18:19], off
	global_wb scope:SCOPE_SYS
	s_wait_storecnt 0x0
	s_wait_xcnt 0x0
	global_atomic_cmpswap_b64 v[12:13], v7, v[16:19], s[2:3] offset:32 th:TH_ATOMIC_RETURN scope:SCOPE_SYS
	s_wait_loadcnt 0x0
	v_cmpx_ne_u64_e64 v[12:13], v[18:19]
	s_cbranch_execz .LBB2_71
; %bb.69:                               ;   in Loop: Header=BB2_3 Depth=1
	s_mov_b32 s11, 0
.LBB2_70:                               ;   Parent Loop BB2_3 Depth=1
                                        ; =>  This Inner Loop Header: Depth=2
	v_dual_mov_b32 v10, s4 :: v_dual_mov_b32 v11, s5
	s_sleep 1
	global_store_b64 v[14:15], v[12:13], off
	global_wb scope:SCOPE_SYS
	s_wait_storecnt 0x0
	s_wait_xcnt 0x0
	global_atomic_cmpswap_b64 v[10:11], v7, v[10:13], s[2:3] offset:32 th:TH_ATOMIC_RETURN scope:SCOPE_SYS
	s_wait_loadcnt 0x0
	v_cmp_eq_u64_e32 vcc_lo, v[10:11], v[12:13]
	v_mov_b64_e32 v[12:13], v[10:11]
	s_or_b32 s11, vcc_lo, s11
	s_delay_alu instid0(SALU_CYCLE_1)
	s_and_not1_b32 exec_lo, exec_lo, s11
	s_cbranch_execnz .LBB2_70
.LBB2_71:                               ;   in Loop: Header=BB2_3 Depth=1
	s_or_b32 exec_lo, exec_lo, s10
	global_load_b64 v[10:11], v7, s[2:3] offset:16
	s_mov_b32 s11, exec_lo
	s_mov_b32 s10, exec_lo
	v_mbcnt_lo_u32_b32 v0, s11, 0
	s_wait_xcnt 0x0
	s_delay_alu instid0(VALU_DEP_1)
	v_cmpx_eq_u32_e32 0, v0
	s_cbranch_execz .LBB2_73
; %bb.72:                               ;   in Loop: Header=BB2_3 Depth=1
	s_bcnt1_i32_b32 s11, s11
	s_delay_alu instid0(SALU_CYCLE_1)
	v_dual_mov_b32 v13, v7 :: v_dual_mov_b32 v12, s11
	global_wb scope:SCOPE_SYS
	s_wait_loadcnt 0x0
	s_wait_storecnt 0x0
	global_atomic_add_u64 v[10:11], v[12:13], off offset:8 scope:SCOPE_SYS
.LBB2_73:                               ;   in Loop: Header=BB2_3 Depth=1
	s_wait_xcnt 0x0
	s_or_b32 exec_lo, exec_lo, s10
	s_wait_loadcnt 0x0
	global_load_b64 v[12:13], v[10:11], off offset:16
	s_wait_loadcnt 0x0
	v_cmp_eq_u64_e32 vcc_lo, 0, v[12:13]
	s_cbranch_vccnz .LBB2_75
; %bb.74:                               ;   in Loop: Header=BB2_3 Depth=1
	global_load_b32 v10, v[10:11], off offset:24
	s_wait_xcnt 0x0
	v_mov_b32_e32 v11, v7
	s_wait_loadcnt 0x0
	v_readfirstlane_b32 s10, v10
	global_wb scope:SCOPE_SYS
	s_wait_storecnt 0x0
	global_store_b64 v[12:13], v[10:11], off scope:SCOPE_SYS
	s_and_b32 m0, s10, 0xffffff
	s_sendmsg sendmsg(MSG_INTERRUPT)
.LBB2_75:                               ;   in Loop: Header=BB2_3 Depth=1
	s_wait_xcnt 0x0
	s_or_b32 exec_lo, exec_lo, s1
	v_add_nc_u64_e32 v[10:11], v[28:29], v[6:7]
	s_branch .LBB2_79
.LBB2_76:                               ;   in Loop: Header=BB2_79 Depth=2
	s_wait_xcnt 0x0
	s_or_b32 exec_lo, exec_lo, s1
	s_delay_alu instid0(VALU_DEP_1)
	v_readfirstlane_b32 s1, v0
	s_cmp_eq_u32 s1, 0
	s_cbranch_scc1 .LBB2_78
; %bb.77:                               ;   in Loop: Header=BB2_79 Depth=2
	s_sleep 1
	s_cbranch_execnz .LBB2_79
	s_branch .LBB2_81
.LBB2_78:                               ;   in Loop: Header=BB2_3 Depth=1
	s_branch .LBB2_81
.LBB2_79:                               ;   Parent Loop BB2_3 Depth=1
                                        ; =>  This Inner Loop Header: Depth=2
	v_mov_b32_e32 v0, 1
	s_and_saveexec_b32 s1, s0
	s_cbranch_execz .LBB2_76
; %bb.80:                               ;   in Loop: Header=BB2_79 Depth=2
	global_load_b32 v0, v[36:37], off offset:20 scope:SCOPE_SYS
	s_wait_loadcnt 0x0
	global_inv scope:SCOPE_SYS
	v_and_b32_e32 v0, 1, v0
	s_branch .LBB2_76
.LBB2_81:                               ;   in Loop: Header=BB2_3 Depth=1
	global_load_b128 v[10:13], v[10:11], off
	s_wait_xcnt 0x0
	s_and_saveexec_b32 s10, s0
	s_cbranch_execz .LBB2_2
; %bb.82:                               ;   in Loop: Header=BB2_3 Depth=1
	s_wait_loadcnt 0x0
	s_clause 0x2
	global_load_b64 v[12:13], v7, s[2:3] offset:40
	global_load_b64 v[20:21], v7, s[2:3] offset:24 scope:SCOPE_SYS
	global_load_b64 v[14:15], v7, s[2:3]
	s_wait_loadcnt 0x2
	v_readfirstlane_b32 s12, v12
	v_readfirstlane_b32 s13, v13
	s_add_nc_u64 s[0:1], s[12:13], 1
	s_delay_alu instid0(SALU_CYCLE_1) | instskip(NEXT) | instid1(SALU_CYCLE_1)
	s_add_nc_u64 s[4:5], s[0:1], s[4:5]
	s_cmp_eq_u64 s[4:5], 0
	s_cselect_b32 s1, s1, s5
	s_cselect_b32 s0, s0, s4
	s_delay_alu instid0(SALU_CYCLE_1) | instskip(SKIP_1) | instid1(SALU_CYCLE_1)
	v_dual_mov_b32 v19, s1 :: v_dual_mov_b32 v18, s0
	s_and_b64 s[4:5], s[0:1], s[12:13]
	s_mul_u64 s[4:5], s[4:5], 24
	s_wait_loadcnt 0x0
	v_add_nc_u64_e32 v[16:17], s[4:5], v[14:15]
	global_store_b64 v[16:17], v[20:21], off
	global_wb scope:SCOPE_SYS
	s_wait_storecnt 0x0
	s_wait_xcnt 0x0
	global_atomic_cmpswap_b64 v[14:15], v7, v[18:21], s[2:3] offset:24 th:TH_ATOMIC_RETURN scope:SCOPE_SYS
	s_wait_loadcnt 0x0
	v_cmp_ne_u64_e32 vcc_lo, v[14:15], v[20:21]
	s_and_b32 exec_lo, exec_lo, vcc_lo
	s_cbranch_execz .LBB2_2
; %bb.83:                               ;   in Loop: Header=BB2_3 Depth=1
	s_mov_b32 s4, 0
.LBB2_84:                               ;   Parent Loop BB2_3 Depth=1
                                        ; =>  This Inner Loop Header: Depth=2
	v_dual_mov_b32 v12, s0 :: v_dual_mov_b32 v13, s1
	s_sleep 1
	global_store_b64 v[16:17], v[14:15], off
	global_wb scope:SCOPE_SYS
	s_wait_storecnt 0x0
	s_wait_xcnt 0x0
	global_atomic_cmpswap_b64 v[12:13], v7, v[12:15], s[2:3] offset:24 th:TH_ATOMIC_RETURN scope:SCOPE_SYS
	s_wait_loadcnt 0x0
	v_cmp_eq_u64_e32 vcc_lo, v[12:13], v[14:15]
	v_mov_b64_e32 v[14:15], v[12:13]
	s_or_b32 s4, vcc_lo, s4
	s_delay_alu instid0(SALU_CYCLE_1)
	s_and_not1_b32 exec_lo, exec_lo, s4
	s_cbranch_execnz .LBB2_84
	s_branch .LBB2_2
.LBB2_85:
	s_or_b32 exec_lo, exec_lo, s7
	s_branch .LBB2_114
.LBB2_86:
	s_load_b64 s[2:3], s[8:9], 0x50
	v_readfirstlane_b32 s0, v30
	v_mov_b64_e32 v[8:9], 0
	s_delay_alu instid0(VALU_DEP_2)
	v_cmp_eq_u32_e64 s0, s0, v30
	s_and_saveexec_b32 s1, s0
	s_cbranch_execz .LBB2_92
; %bb.87:
	v_mov_b32_e32 v0, 0
	s_mov_b32 s4, exec_lo
	s_wait_kmcnt 0x0
	global_load_b64 v[6:7], v0, s[2:3] offset:24 scope:SCOPE_SYS
	s_wait_loadcnt 0x0
	global_inv scope:SCOPE_SYS
	s_clause 0x1
	global_load_b64 v[4:5], v0, s[2:3] offset:40
	global_load_b64 v[8:9], v0, s[2:3]
	s_wait_loadcnt 0x1
	v_and_b32_e32 v4, v4, v6
	v_and_b32_e32 v5, v5, v7
	s_delay_alu instid0(VALU_DEP_1) | instskip(SKIP_1) | instid1(VALU_DEP_1)
	v_mul_u64_e32 v[4:5], 24, v[4:5]
	s_wait_loadcnt 0x0
	v_add_nc_u64_e32 v[4:5], v[8:9], v[4:5]
	global_load_b64 v[4:5], v[4:5], off scope:SCOPE_SYS
	s_wait_xcnt 0x0
	s_wait_loadcnt 0x0
	global_atomic_cmpswap_b64 v[8:9], v0, v[4:7], s[2:3] offset:24 th:TH_ATOMIC_RETURN scope:SCOPE_SYS
	s_wait_loadcnt 0x0
	global_inv scope:SCOPE_SYS
	s_wait_xcnt 0x0
	v_cmpx_ne_u64_e64 v[8:9], v[6:7]
	s_cbranch_execz .LBB2_91
; %bb.88:
	s_mov_b32 s5, 0
.LBB2_89:                               ; =>This Inner Loop Header: Depth=1
	s_sleep 1
	s_clause 0x1
	global_load_b64 v[4:5], v0, s[2:3] offset:40
	global_load_b64 v[10:11], v0, s[2:3]
	v_mov_b64_e32 v[6:7], v[8:9]
	s_wait_loadcnt 0x1
	s_delay_alu instid0(VALU_DEP_1) | instskip(SKIP_1) | instid1(VALU_DEP_1)
	v_and_b32_e32 v2, v4, v6
	s_wait_loadcnt 0x0
	v_mad_nc_u64_u32 v[8:9], v2, 24, v[10:11]
	s_delay_alu instid0(VALU_DEP_3) | instskip(NEXT) | instid1(VALU_DEP_1)
	v_and_b32_e32 v2, v5, v7
	v_mad_u32 v9, v2, 24, v9
	global_load_b64 v[4:5], v[8:9], off scope:SCOPE_SYS
	s_wait_xcnt 0x0
	s_wait_loadcnt 0x0
	global_atomic_cmpswap_b64 v[8:9], v0, v[4:7], s[2:3] offset:24 th:TH_ATOMIC_RETURN scope:SCOPE_SYS
	s_wait_loadcnt 0x0
	global_inv scope:SCOPE_SYS
	v_cmp_eq_u64_e32 vcc_lo, v[8:9], v[6:7]
	s_or_b32 s5, vcc_lo, s5
	s_wait_xcnt 0x0
	s_and_not1_b32 exec_lo, exec_lo, s5
	s_cbranch_execnz .LBB2_89
; %bb.90:
	s_or_b32 exec_lo, exec_lo, s5
.LBB2_91:
	s_delay_alu instid0(SALU_CYCLE_1)
	s_or_b32 exec_lo, exec_lo, s4
.LBB2_92:
	s_delay_alu instid0(SALU_CYCLE_1)
	s_or_b32 exec_lo, exec_lo, s1
	v_readfirstlane_b32 s4, v8
	v_mov_b32_e32 v2, 0
	v_readfirstlane_b32 s5, v9
	s_mov_b32 s1, exec_lo
	s_wait_loadcnt 0x0
	s_wait_kmcnt 0x0
	s_clause 0x1
	global_load_b64 v[10:11], v2, s[2:3] offset:40
	global_load_b128 v[4:7], v2, s[2:3]
	s_wait_loadcnt 0x1
	v_and_b32_e32 v10, s4, v10
	v_and_b32_e32 v11, s5, v11
	s_delay_alu instid0(VALU_DEP_1) | instskip(SKIP_1) | instid1(VALU_DEP_1)
	v_mul_u64_e32 v[8:9], 24, v[10:11]
	s_wait_loadcnt 0x0
	v_add_nc_u64_e32 v[8:9], v[4:5], v[8:9]
	s_wait_xcnt 0x0
	s_and_saveexec_b32 s6, s0
	s_cbranch_execz .LBB2_94
; %bb.93:
	v_mov_b64_e32 v[14:15], 0x100000002
	v_dual_mov_b32 v12, s1 :: v_dual_mov_b32 v13, v2
	global_store_b128 v[8:9], v[12:15], off offset:8
.LBB2_94:
	s_wait_xcnt 0x0
	s_or_b32 exec_lo, exec_lo, s6
	v_lshlrev_b64_e32 v[10:11], 12, v[10:11]
	s_mov_b32 s8, 0
	v_and_or_b32 v0, 0xffffff1f, v3, 32
	s_mov_b32 s10, s8
	s_mov_b32 s11, s8
	;; [unrolled: 1-line block ×3, first 2 shown]
	v_dual_mov_b32 v3, v2 :: v_dual_lshlrev_b32 v14, 6, v30
	v_add_nc_u64_e32 v[6:7], v[6:7], v[10:11]
	v_mov_b64_e32 v[12:13], s[10:11]
	v_mov_b64_e32 v[10:11], s[8:9]
	s_delay_alu instid0(VALU_DEP_3) | instskip(NEXT) | instid1(VALU_DEP_4)
	v_readfirstlane_b32 s6, v6
	v_readfirstlane_b32 s7, v7
	s_clause 0x3
	global_store_b128 v14, v[0:3], s[6:7]
	global_store_b128 v14, v[10:13], s[6:7] offset:16
	global_store_b128 v14, v[10:13], s[6:7] offset:32
	;; [unrolled: 1-line block ×3, first 2 shown]
	s_wait_xcnt 0x0
	s_and_saveexec_b32 s1, s0
	s_cbranch_execz .LBB2_102
; %bb.95:
	v_dual_mov_b32 v6, 0 :: v_dual_mov_b32 v11, s5
	s_mov_b32 s6, exec_lo
	s_clause 0x1
	global_load_b64 v[12:13], v6, s[2:3] offset:32 scope:SCOPE_SYS
	global_load_b64 v[0:1], v6, s[2:3] offset:40
	s_wait_loadcnt 0x0
	v_dual_mov_b32 v10, s4 :: v_dual_bitop2_b32 v1, s5, v1 bitop3:0x40
	v_and_b32_e32 v0, s4, v0
	s_delay_alu instid0(VALU_DEP_1) | instskip(NEXT) | instid1(VALU_DEP_1)
	v_mul_u64_e32 v[0:1], 24, v[0:1]
	v_add_nc_u64_e32 v[4:5], v[4:5], v[0:1]
	global_store_b64 v[4:5], v[12:13], off
	global_wb scope:SCOPE_SYS
	s_wait_storecnt 0x0
	s_wait_xcnt 0x0
	global_atomic_cmpswap_b64 v[2:3], v6, v[10:13], s[2:3] offset:32 th:TH_ATOMIC_RETURN scope:SCOPE_SYS
	s_wait_loadcnt 0x0
	v_cmpx_ne_u64_e64 v[2:3], v[12:13]
	s_cbranch_execz .LBB2_98
; %bb.96:
	s_mov_b32 s7, 0
.LBB2_97:                               ; =>This Inner Loop Header: Depth=1
	v_dual_mov_b32 v0, s4 :: v_dual_mov_b32 v1, s5
	s_sleep 1
	global_store_b64 v[4:5], v[2:3], off
	global_wb scope:SCOPE_SYS
	s_wait_storecnt 0x0
	s_wait_xcnt 0x0
	global_atomic_cmpswap_b64 v[0:1], v6, v[0:3], s[2:3] offset:32 th:TH_ATOMIC_RETURN scope:SCOPE_SYS
	s_wait_loadcnt 0x0
	v_cmp_eq_u64_e32 vcc_lo, v[0:1], v[2:3]
	v_mov_b64_e32 v[2:3], v[0:1]
	s_or_b32 s7, vcc_lo, s7
	s_delay_alu instid0(SALU_CYCLE_1)
	s_and_not1_b32 exec_lo, exec_lo, s7
	s_cbranch_execnz .LBB2_97
.LBB2_98:
	s_or_b32 exec_lo, exec_lo, s6
	v_mov_b32_e32 v3, 0
	s_mov_b32 s7, exec_lo
	s_mov_b32 s6, exec_lo
	v_mbcnt_lo_u32_b32 v2, s7, 0
	global_load_b64 v[0:1], v3, s[2:3] offset:16
	s_wait_xcnt 0x0
	v_cmpx_eq_u32_e32 0, v2
	s_cbranch_execz .LBB2_100
; %bb.99:
	s_bcnt1_i32_b32 s7, s7
	s_delay_alu instid0(SALU_CYCLE_1)
	v_mov_b32_e32 v2, s7
	global_wb scope:SCOPE_SYS
	s_wait_loadcnt 0x0
	s_wait_storecnt 0x0
	global_atomic_add_u64 v[0:1], v[2:3], off offset:8 scope:SCOPE_SYS
.LBB2_100:
	s_wait_xcnt 0x0
	s_or_b32 exec_lo, exec_lo, s6
	s_wait_loadcnt 0x0
	global_load_b64 v[2:3], v[0:1], off offset:16
	s_wait_loadcnt 0x0
	v_cmp_eq_u64_e32 vcc_lo, 0, v[2:3]
	s_cbranch_vccnz .LBB2_102
; %bb.101:
	global_load_b32 v0, v[0:1], off offset:24
	s_wait_xcnt 0x0
	v_mov_b32_e32 v1, 0
	s_wait_loadcnt 0x0
	v_readfirstlane_b32 s6, v0
	global_wb scope:SCOPE_SYS
	s_wait_storecnt 0x0
	global_store_b64 v[2:3], v[0:1], off scope:SCOPE_SYS
	s_and_b32 m0, s6, 0xffffff
	s_sendmsg sendmsg(MSG_INTERRUPT)
.LBB2_102:
	s_wait_xcnt 0x0
	s_or_b32 exec_lo, exec_lo, s1
	s_branch .LBB2_106
.LBB2_103:                              ;   in Loop: Header=BB2_106 Depth=1
	s_wait_xcnt 0x0
	s_or_b32 exec_lo, exec_lo, s1
	s_delay_alu instid0(VALU_DEP_1)
	v_readfirstlane_b32 s1, v0
	s_cmp_eq_u32 s1, 0
	s_cbranch_scc1 .LBB2_105
; %bb.104:                              ;   in Loop: Header=BB2_106 Depth=1
	s_sleep 1
	s_cbranch_execnz .LBB2_106
	s_branch .LBB2_108
.LBB2_105:
	s_branch .LBB2_108
.LBB2_106:                              ; =>This Inner Loop Header: Depth=1
	v_mov_b32_e32 v0, 1
	s_and_saveexec_b32 s1, s0
	s_cbranch_execz .LBB2_103
; %bb.107:                              ;   in Loop: Header=BB2_106 Depth=1
	global_load_b32 v0, v[8:9], off offset:20 scope:SCOPE_SYS
	s_wait_loadcnt 0x0
	global_inv scope:SCOPE_SYS
	v_and_b32_e32 v0, 1, v0
	s_branch .LBB2_103
.LBB2_108:
	s_and_saveexec_b32 s6, s0
	s_cbranch_execz .LBB2_112
; %bb.109:
	v_mov_b32_e32 v6, 0
	s_clause 0x2
	global_load_b64 v[0:1], v6, s[2:3] offset:40
	global_load_b64 v[10:11], v6, s[2:3] offset:24 scope:SCOPE_SYS
	global_load_b64 v[2:3], v6, s[2:3]
	s_wait_loadcnt 0x2
	v_readfirstlane_b32 s8, v0
	v_readfirstlane_b32 s9, v1
	s_add_nc_u64 s[0:1], s[8:9], 1
	s_delay_alu instid0(SALU_CYCLE_1) | instskip(NEXT) | instid1(SALU_CYCLE_1)
	s_add_nc_u64 s[4:5], s[0:1], s[4:5]
	s_cmp_eq_u64 s[4:5], 0
	s_cselect_b32 s1, s1, s5
	s_cselect_b32 s0, s0, s4
	v_mov_b32_e32 v9, s1
	s_and_b64 s[4:5], s[0:1], s[8:9]
	v_mov_b32_e32 v8, s0
	s_mul_u64 s[4:5], s[4:5], 24
	s_wait_loadcnt 0x0
	v_add_nc_u64_e32 v[4:5], s[4:5], v[2:3]
	global_store_b64 v[4:5], v[10:11], off
	global_wb scope:SCOPE_SYS
	s_wait_storecnt 0x0
	s_wait_xcnt 0x0
	global_atomic_cmpswap_b64 v[2:3], v6, v[8:11], s[2:3] offset:24 th:TH_ATOMIC_RETURN scope:SCOPE_SYS
	s_wait_loadcnt 0x0
	v_cmp_ne_u64_e32 vcc_lo, v[2:3], v[10:11]
	s_and_b32 exec_lo, exec_lo, vcc_lo
	s_cbranch_execz .LBB2_112
; %bb.110:
	s_mov_b32 s4, 0
.LBB2_111:                              ; =>This Inner Loop Header: Depth=1
	v_dual_mov_b32 v0, s0 :: v_dual_mov_b32 v1, s1
	s_sleep 1
	global_store_b64 v[4:5], v[2:3], off
	global_wb scope:SCOPE_SYS
	s_wait_storecnt 0x0
	s_wait_xcnt 0x0
	global_atomic_cmpswap_b64 v[0:1], v6, v[0:3], s[2:3] offset:24 th:TH_ATOMIC_RETURN scope:SCOPE_SYS
	s_wait_loadcnt 0x0
	v_cmp_eq_u64_e32 vcc_lo, v[0:1], v[2:3]
	v_mov_b64_e32 v[2:3], v[0:1]
	s_or_b32 s4, vcc_lo, s4
	s_delay_alu instid0(SALU_CYCLE_1)
	s_and_not1_b32 exec_lo, exec_lo, s4
	s_cbranch_execnz .LBB2_111
.LBB2_112:
	s_or_b32 exec_lo, exec_lo, s6
	s_wait_loadcnt 0x0
	s_wait_kmcnt 0x0
	s_set_pc_i64 s[30:31]
.LBB2_113:
	s_cbranch_execnz .LBB2_86
.LBB2_114:
	s_wait_loadcnt 0x0
	s_wait_kmcnt 0x0
	s_set_pc_i64 s[30:31]
.Lfunc_end2:
	.size	__ockl_fprintf_append_string_n, .Lfunc_end2-__ockl_fprintf_append_string_n
                                        ; -- End function
	.set .L__ockl_fprintf_append_string_n.num_vgpr, 40
	.set .L__ockl_fprintf_append_string_n.num_agpr, 0
	.set .L__ockl_fprintf_append_string_n.numbered_sgpr, 32
	.set .L__ockl_fprintf_append_string_n.num_named_barrier, 0
	.set .L__ockl_fprintf_append_string_n.private_seg_size, 0
	.set .L__ockl_fprintf_append_string_n.uses_vcc, 1
	.set .L__ockl_fprintf_append_string_n.uses_flat_scratch, 0
	.set .L__ockl_fprintf_append_string_n.has_dyn_sized_stack, 0
	.set .L__ockl_fprintf_append_string_n.has_recursion, 0
	.set .L__ockl_fprintf_append_string_n.has_indirect_call, 0
	.section	.AMDGPU.csdata,"",@progbits
; Function info:
; codeLenInByte = 4324
; TotalNumSgprs: 34
; NumVgprs: 40
; ScratchSize: 0
; MemoryBound: 0
	.text
	.p2align	2                               ; -- Begin function __assert_fail
	.type	__assert_fail,@function
__assert_fail:                          ; @__assert_fail
; %bb.0:
	s_wait_loadcnt_dscnt 0x0
	s_wait_kmcnt 0x0
	s_mov_b32 s20, s33
	s_mov_b32 s33, s32
	s_or_saveexec_b32 s0, -1
	scratch_store_b32 off, v40, s33 offset:48 ; 4-byte Folded Spill
	s_wait_xcnt 0x0
	s_mov_b32 exec_lo, s0
	v_writelane_b32 v40, s30, 0
	s_add_co_i32 s32, s32, 64
	v_writelane_b32 v40, s31, 1
	v_mov_b32_e32 v8, 0
	s_get_pc_i64 s[0:1]
	s_add_nc_u64 s[0:1], s[0:1], __const.__assert_fail.fmt@rel64+35
	v_dual_mov_b32 v5, v1 :: v_dual_mov_b32 v4, v0
	s_get_pc_i64 s[10:11]
	s_add_nc_u64 s[10:11], s[10:11], __const.__assert_fail.fmt@rel64+20
	global_load_b128 v[0:3], v8, s[0:1]
	s_wait_xcnt 0x0
	s_get_pc_i64 s[0:1]
	s_add_nc_u64 s[0:1], s[0:1], __const.__assert_fail.fmt@rel64+4
	s_clause 0x1
	s_load_b128 s[4:7], s[0:1], 0x0
	s_load_b128 s[12:15], s[10:11], 0x0
	s_load_b64 s[2:3], s[8:9], 0x50
	v_mbcnt_lo_u32_b32 v48, -1, 0
	v_mov_b64_e32 v[6:7], 0
	s_wait_xcnt 0x0
	s_delay_alu instid0(VALU_DEP_2) | instskip(NEXT) | instid1(VALU_DEP_1)
	v_readfirstlane_b32 s0, v48
	v_cmp_eq_u32_e64 s0, s0, v48
	s_wait_kmcnt 0x0
	v_mov_b64_e32 v[12:13], s[6:7]
	v_mov_b64_e32 v[10:11], s[4:5]
	;; [unrolled: 1-line block ×4, first 2 shown]
	s_clause 0x1
	scratch_store_b128 off, v[10:13], s33
	scratch_store_b128 off, v[14:17], s33 offset:16
	s_wait_loadcnt 0x0
	scratch_store_b128 off, v[0:3], s33 offset:31
	s_wait_xcnt 0x0
	s_and_saveexec_b32 s1, s0
	s_cbranch_execz .LBB3_6
; %bb.1:
	global_load_b64 v[2:3], v8, s[2:3] offset:24 scope:SCOPE_SYS
	s_wait_loadcnt 0x0
	global_inv scope:SCOPE_SYS
	s_clause 0x1
	global_load_b64 v[0:1], v8, s[2:3] offset:40
	global_load_b64 v[6:7], v8, s[2:3]
	s_mov_b32 s4, exec_lo
	s_wait_loadcnt 0x1
	v_and_b32_e32 v0, v0, v2
	v_and_b32_e32 v1, v1, v3
	s_delay_alu instid0(VALU_DEP_1) | instskip(SKIP_1) | instid1(VALU_DEP_1)
	v_mul_u64_e32 v[0:1], 24, v[0:1]
	s_wait_loadcnt 0x0
	v_add_nc_u64_e32 v[0:1], v[6:7], v[0:1]
	global_load_b64 v[0:1], v[0:1], off scope:SCOPE_SYS
	s_wait_xcnt 0x0
	s_wait_loadcnt 0x0
	global_atomic_cmpswap_b64 v[6:7], v8, v[0:3], s[2:3] offset:24 th:TH_ATOMIC_RETURN scope:SCOPE_SYS
	s_wait_loadcnt 0x0
	global_inv scope:SCOPE_SYS
	s_wait_xcnt 0x0
	v_cmpx_ne_u64_e64 v[6:7], v[2:3]
	s_cbranch_execz .LBB3_5
; %bb.2:
	v_mov_b32_e32 v0, 0
	s_mov_b32 s5, 0
.LBB3_3:                                ; =>This Inner Loop Header: Depth=1
	s_sleep 1
	s_clause 0x1
	global_load_b64 v[2:3], v0, s[2:3] offset:40
	global_load_b64 v[10:11], v0, s[2:3]
	v_mov_b64_e32 v[12:13], v[6:7]
	s_wait_loadcnt 0x1
	s_delay_alu instid0(VALU_DEP_1) | instskip(SKIP_1) | instid1(VALU_DEP_1)
	v_and_b32_e32 v1, v2, v12
	s_wait_loadcnt 0x0
	v_mad_nc_u64_u32 v[6:7], v1, 24, v[10:11]
	s_delay_alu instid0(VALU_DEP_3) | instskip(NEXT) | instid1(VALU_DEP_1)
	v_and_b32_e32 v1, v3, v13
	v_mad_u32 v7, v1, 24, v7
	global_load_b64 v[10:11], v[6:7], off scope:SCOPE_SYS
	s_wait_xcnt 0x0
	s_wait_loadcnt 0x0
	global_atomic_cmpswap_b64 v[6:7], v0, v[10:13], s[2:3] offset:24 th:TH_ATOMIC_RETURN scope:SCOPE_SYS
	s_wait_loadcnt 0x0
	global_inv scope:SCOPE_SYS
	v_cmp_eq_u64_e32 vcc_lo, v[6:7], v[12:13]
	s_or_b32 s5, vcc_lo, s5
	s_wait_xcnt 0x0
	s_and_not1_b32 exec_lo, exec_lo, s5
	s_cbranch_execnz .LBB3_3
; %bb.4:
	s_or_b32 exec_lo, exec_lo, s5
.LBB3_5:
	s_delay_alu instid0(SALU_CYCLE_1)
	s_or_b32 exec_lo, exec_lo, s4
.LBB3_6:
	s_delay_alu instid0(SALU_CYCLE_1)
	s_or_b32 exec_lo, exec_lo, s1
	s_clause 0x1
	global_load_b64 v[10:11], v8, s[2:3] offset:40
	global_load_b128 v[0:3], v8, s[2:3]
	v_readfirstlane_b32 s4, v6
	v_readfirstlane_b32 s5, v7
	s_mov_b32 s1, exec_lo
	s_wait_loadcnt 0x1
	s_wait_xcnt 0x0
	v_and_b32_e32 v8, s4, v10
	v_and_b32_e32 v9, s5, v11
	s_delay_alu instid0(VALU_DEP_1) | instskip(SKIP_1) | instid1(VALU_DEP_1)
	v_mul_u64_e32 v[6:7], 24, v[8:9]
	s_wait_loadcnt 0x0
	v_add_nc_u64_e32 v[6:7], v[0:1], v[6:7]
	s_and_saveexec_b32 s6, s0
	s_cbranch_execz .LBB3_8
; %bb.7:
	v_mov_b64_e32 v[12:13], 0x100000002
	v_dual_mov_b32 v10, s1 :: v_dual_mov_b32 v11, 0
	global_store_b128 v[6:7], v[10:13], off offset:8
.LBB3_8:
	s_wait_xcnt 0x0
	s_or_b32 exec_lo, exec_lo, s6
	v_lshlrev_b64_e32 v[8:9], 12, v[8:9]
	s_mov_b32 s12, 0
	v_dual_mov_b32 v31, 0 :: v_dual_lshlrev_b32 v30, 6, v48
	s_mov_b32 s14, s12
	s_mov_b32 s15, s12
	s_mov_b32 s13, s12
	s_delay_alu instid0(VALU_DEP_2)
	v_add_nc_u64_e32 v[8:9], v[2:3], v[8:9]
	v_mov_b64_e32 v[16:17], s[14:15]
	v_mov_b64_e32 v[14:15], s[12:13]
	v_dual_mov_b32 v10, 33 :: v_dual_mov_b32 v12, 1
	v_dual_mov_b32 v11, v31 :: v_dual_mov_b32 v13, v31
	v_readfirstlane_b32 s6, v8
	v_readfirstlane_b32 s7, v9
	s_clause 0x3
	global_store_b128 v30, v[10:13], s[6:7]
	global_store_b128 v30, v[14:17], s[6:7] offset:16
	global_store_b128 v30, v[14:17], s[6:7] offset:32
	;; [unrolled: 1-line block ×3, first 2 shown]
	s_wait_xcnt 0x0
	s_and_saveexec_b32 s1, s0
	s_cbranch_execz .LBB3_16
; %bb.9:
	s_clause 0x1
	global_load_b64 v[14:15], v31, s[2:3] offset:32 scope:SCOPE_SYS
	global_load_b64 v[2:3], v31, s[2:3] offset:40
	s_mov_b32 s6, exec_lo
	v_dual_mov_b32 v12, s4 :: v_dual_mov_b32 v13, s5
	s_wait_loadcnt 0x0
	v_and_b32_e32 v3, s5, v3
	v_and_b32_e32 v2, s4, v2
	s_delay_alu instid0(VALU_DEP_1) | instskip(NEXT) | instid1(VALU_DEP_1)
	v_mul_u64_e32 v[2:3], 24, v[2:3]
	v_add_nc_u64_e32 v[10:11], v[0:1], v[2:3]
	global_store_b64 v[10:11], v[14:15], off
	global_wb scope:SCOPE_SYS
	s_wait_storecnt 0x0
	s_wait_xcnt 0x0
	global_atomic_cmpswap_b64 v[2:3], v31, v[12:15], s[2:3] offset:32 th:TH_ATOMIC_RETURN scope:SCOPE_SYS
	s_wait_loadcnt 0x0
	v_cmpx_ne_u64_e64 v[2:3], v[14:15]
	s_cbranch_execz .LBB3_12
; %bb.10:
	v_mov_b32_e32 v12, 0
	s_mov_b32 s7, 0
.LBB3_11:                               ; =>This Inner Loop Header: Depth=1
	v_dual_mov_b32 v0, s4 :: v_dual_mov_b32 v1, s5
	s_sleep 1
	global_store_b64 v[10:11], v[2:3], off
	global_wb scope:SCOPE_SYS
	s_wait_storecnt 0x0
	s_wait_xcnt 0x0
	global_atomic_cmpswap_b64 v[0:1], v12, v[0:3], s[2:3] offset:32 th:TH_ATOMIC_RETURN scope:SCOPE_SYS
	s_wait_loadcnt 0x0
	v_cmp_eq_u64_e32 vcc_lo, v[0:1], v[2:3]
	v_mov_b64_e32 v[2:3], v[0:1]
	s_or_b32 s7, vcc_lo, s7
	s_delay_alu instid0(SALU_CYCLE_1)
	s_and_not1_b32 exec_lo, exec_lo, s7
	s_cbranch_execnz .LBB3_11
.LBB3_12:
	s_or_b32 exec_lo, exec_lo, s6
	v_mov_b32_e32 v3, 0
	s_mov_b32 s7, exec_lo
	s_mov_b32 s6, exec_lo
	v_mbcnt_lo_u32_b32 v2, s7, 0
	global_load_b64 v[0:1], v3, s[2:3] offset:16
	s_wait_xcnt 0x0
	v_cmpx_eq_u32_e32 0, v2
	s_cbranch_execz .LBB3_14
; %bb.13:
	s_bcnt1_i32_b32 s7, s7
	s_delay_alu instid0(SALU_CYCLE_1)
	v_mov_b32_e32 v2, s7
	global_wb scope:SCOPE_SYS
	s_wait_loadcnt 0x0
	s_wait_storecnt 0x0
	global_atomic_add_u64 v[0:1], v[2:3], off offset:8 scope:SCOPE_SYS
.LBB3_14:
	s_wait_xcnt 0x0
	s_or_b32 exec_lo, exec_lo, s6
	s_wait_loadcnt 0x0
	global_load_b64 v[2:3], v[0:1], off offset:16
	s_wait_loadcnt 0x0
	v_cmp_eq_u64_e32 vcc_lo, 0, v[2:3]
	s_cbranch_vccnz .LBB3_16
; %bb.15:
	global_load_b32 v0, v[0:1], off offset:24
	s_wait_xcnt 0x0
	v_mov_b32_e32 v1, 0
	s_wait_loadcnt 0x0
	v_readfirstlane_b32 s6, v0
	global_wb scope:SCOPE_SYS
	s_wait_storecnt 0x0
	global_store_b64 v[2:3], v[0:1], off scope:SCOPE_SYS
	s_and_b32 m0, s6, 0xffffff
	s_sendmsg sendmsg(MSG_INTERRUPT)
.LBB3_16:
	s_wait_xcnt 0x0
	s_or_b32 exec_lo, exec_lo, s1
	v_add_nc_u64_e32 v[0:1], v[8:9], v[30:31]
	s_branch .LBB3_20
.LBB3_17:                               ;   in Loop: Header=BB3_20 Depth=1
	s_wait_xcnt 0x0
	s_or_b32 exec_lo, exec_lo, s1
	s_delay_alu instid0(VALU_DEP_1)
	v_readfirstlane_b32 s1, v2
	s_cmp_eq_u32 s1, 0
	s_cbranch_scc1 .LBB3_19
; %bb.18:                               ;   in Loop: Header=BB3_20 Depth=1
	s_sleep 1
	s_cbranch_execnz .LBB3_20
	s_branch .LBB3_22
.LBB3_19:
	s_branch .LBB3_22
.LBB3_20:                               ; =>This Inner Loop Header: Depth=1
	v_mov_b32_e32 v2, 1
	s_and_saveexec_b32 s1, s0
	s_cbranch_execz .LBB3_17
; %bb.21:                               ;   in Loop: Header=BB3_20 Depth=1
	global_load_b32 v2, v[6:7], off offset:20 scope:SCOPE_SYS
	s_wait_loadcnt 0x0
	global_inv scope:SCOPE_SYS
	v_and_b32_e32 v2, 1, v2
	s_branch .LBB3_17
.LBB3_22:
	global_load_b64 v[6:7], v[0:1], off
	s_wait_xcnt 0x0
	s_and_saveexec_b32 s6, s0
	s_cbranch_execz .LBB3_26
; %bb.23:
	v_mov_b32_e32 v10, 0
	s_clause 0x2
	global_load_b64 v[0:1], v10, s[2:3] offset:40
	global_load_b64 v[14:15], v10, s[2:3] offset:24 scope:SCOPE_SYS
	global_load_b64 v[2:3], v10, s[2:3]
	s_wait_loadcnt 0x2
	v_readfirstlane_b32 s10, v0
	v_readfirstlane_b32 s11, v1
	s_add_nc_u64 s[0:1], s[10:11], 1
	s_delay_alu instid0(SALU_CYCLE_1) | instskip(NEXT) | instid1(SALU_CYCLE_1)
	s_add_nc_u64 s[4:5], s[0:1], s[4:5]
	s_cmp_eq_u64 s[4:5], 0
	s_cselect_b32 s1, s1, s5
	s_cselect_b32 s0, s0, s4
	v_mov_b32_e32 v13, s1
	s_and_b64 s[4:5], s[0:1], s[10:11]
	v_mov_b32_e32 v12, s0
	s_mul_u64 s[4:5], s[4:5], 24
	s_wait_loadcnt 0x0
	v_add_nc_u64_e32 v[8:9], s[4:5], v[2:3]
	global_store_b64 v[8:9], v[14:15], off
	global_wb scope:SCOPE_SYS
	s_wait_storecnt 0x0
	s_wait_xcnt 0x0
	global_atomic_cmpswap_b64 v[2:3], v10, v[12:15], s[2:3] offset:24 th:TH_ATOMIC_RETURN scope:SCOPE_SYS
	s_wait_loadcnt 0x0
	v_cmp_ne_u64_e32 vcc_lo, v[2:3], v[14:15]
	s_and_b32 exec_lo, exec_lo, vcc_lo
	s_cbranch_execz .LBB3_26
; %bb.24:
	s_mov_b32 s4, 0
.LBB3_25:                               ; =>This Inner Loop Header: Depth=1
	v_dual_mov_b32 v0, s0 :: v_dual_mov_b32 v1, s1
	s_sleep 1
	global_store_b64 v[8:9], v[2:3], off
	global_wb scope:SCOPE_SYS
	s_wait_storecnt 0x0
	s_wait_xcnt 0x0
	global_atomic_cmpswap_b64 v[0:1], v10, v[0:3], s[2:3] offset:24 th:TH_ATOMIC_RETURN scope:SCOPE_SYS
	s_wait_loadcnt 0x0
	v_cmp_eq_u64_e32 vcc_lo, v[0:1], v[2:3]
	v_mov_b64_e32 v[2:3], v[0:1]
	s_or_b32 s4, vcc_lo, s4
	s_delay_alu instid0(SALU_CYCLE_1)
	s_and_not1_b32 exec_lo, exec_lo, s4
	s_cbranch_execnz .LBB3_25
.LBB3_26:
	s_or_b32 exec_lo, exec_lo, s6
	s_mov_b32 s1, s33
	s_mov_b32 s0, 0
.LBB3_27:                               ; =>This Inner Loop Header: Depth=1
	scratch_load_u8 v0, off, s1
	s_wait_xcnt 0x0
	s_add_co_i32 s1, s1, 1
	s_wait_loadcnt 0x0
	v_cmp_eq_u16_e32 vcc_lo, 0, v0
	v_mov_b32_e32 v0, s1
	s_or_b32 s0, vcc_lo, s0
	s_delay_alu instid0(SALU_CYCLE_1)
	s_and_not1_b32 exec_lo, exec_lo, s0
	s_cbranch_execnz .LBB3_27
; %bb.28:
	s_or_b32 exec_lo, exec_lo, s0
	s_cmp_lg_u32 s33, -1
	s_cbranch_scc0 .LBB3_113
; %bb.29:
	s_mov_b64 s[0:1], src_flat_scratch_base_lo
	v_mov_b64_e32 v[10:11], 0x100000002
	v_dual_add_nc_u32 v0, s0, v0 :: v_dual_bitop2_b32 v28, 2, v6 bitop3:0x40
	s_add_co_i32 s0, s33, s0
	v_dual_mov_b32 v31, 0 :: v_dual_mov_b32 v29, s33
	s_delay_alu instid0(VALU_DEP_2) | instskip(SKIP_3) | instid1(VALU_DEP_2)
	v_subrev_nc_u32_e32 v32, s0, v0
	v_dual_mov_b32 v1, v7 :: v_dual_bitop2_b32 v0, -3, v6 bitop3:0x40
	s_mov_b32 s7, 0
	s_mov_b32 s6, 0
	v_ashrrev_i32_e32 v33, 31, v32
	s_branch .LBB3_31
.LBB3_30:                               ;   in Loop: Header=BB3_31 Depth=1
	s_or_b32 exec_lo, exec_lo, s10
	v_sub_nc_u64_e32 v[32:33], v[32:33], v[34:35]
	v_add_nc_u32_e32 v29, v29, v34
	s_delay_alu instid0(VALU_DEP_2) | instskip(SKIP_1) | instid1(SALU_CYCLE_1)
	v_cmp_eq_u64_e32 vcc_lo, 0, v[32:33]
	s_or_b32 s6, vcc_lo, s6
	s_and_not1_b32 exec_lo, exec_lo, s6
	s_cbranch_execz .LBB3_192
.LBB3_31:                               ; =>This Loop Header: Depth=1
                                        ;     Child Loop BB3_34 Depth 2
                                        ;     Child Loop BB3_42 Depth 2
	;; [unrolled: 1-line block ×11, first 2 shown]
	s_delay_alu instid0(VALU_DEP_1)
	v_min_u64 v[34:35], v[32:33], 56
	v_add_nc_u32_e32 v9, 8, v29
	s_mov_b32 s0, exec_lo
	v_cmpx_gt_u64_e32 8, v[32:33]
	s_xor_b32 s4, exec_lo, s0
	s_cbranch_execz .LBB3_37
; %bb.32:                               ;   in Loop: Header=BB3_31 Depth=1
	v_mov_b64_e32 v[2:3], 0
	s_mov_b32 s5, exec_lo
	v_cmpx_ne_u64_e32 0, v[32:33]
	s_cbranch_execz .LBB3_36
; %bb.33:                               ;   in Loop: Header=BB3_31 Depth=1
	v_mov_b64_e32 v[2:3], 0
	v_dual_mov_b32 v9, v29 :: v_dual_lshlrev_b32 v8, 3, v34
	s_mov_b64 s[0:1], 0
	s_mov_b32 s10, 0
.LBB3_34:                               ;   Parent Loop BB3_31 Depth=1
                                        ; =>  This Inner Loop Header: Depth=2
	scratch_load_u8 v12, v9, off
	s_wait_xcnt 0x0
	v_dual_mov_b32 v13, s7 :: v_dual_add_nc_u32 v9, 1, v9
	s_wait_loadcnt 0x0
	v_and_b32_e32 v12, 0xffff, v12
	s_delay_alu instid0(VALU_DEP_1) | instskip(SKIP_1) | instid1(SALU_CYCLE_1)
	v_lshlrev_b64_e32 v[12:13], s0, v[12:13]
	s_add_nc_u64 s[0:1], s[0:1], 8
	v_cmp_eq_u32_e32 vcc_lo, s0, v8
	s_delay_alu instid0(VALU_DEP_2) | instskip(NEXT) | instid1(VALU_DEP_3)
	v_or_b32_e32 v3, v13, v3
	v_or_b32_e32 v2, v12, v2
	s_or_b32 s10, vcc_lo, s10
	s_delay_alu instid0(SALU_CYCLE_1)
	s_and_not1_b32 exec_lo, exec_lo, s10
	s_cbranch_execnz .LBB3_34
; %bb.35:                               ;   in Loop: Header=BB3_31 Depth=1
	s_or_b32 exec_lo, exec_lo, s10
.LBB3_36:                               ;   in Loop: Header=BB3_31 Depth=1
	s_delay_alu instid0(SALU_CYCLE_1)
	s_or_b32 exec_lo, exec_lo, s5
	v_mov_b32_e32 v9, v29
.LBB3_37:                               ;   in Loop: Header=BB3_31 Depth=1
	s_or_saveexec_b32 s0, s4
	v_mov_b32_e32 v14, 0
	s_xor_b32 exec_lo, exec_lo, s0
	s_cbranch_execz .LBB3_39
; %bb.38:                               ;   in Loop: Header=BB3_31 Depth=1
	scratch_load_b64 v[2:3], v29, off
	v_add_nc_u32_e32 v14, -8, v34
.LBB3_39:                               ;   in Loop: Header=BB3_31 Depth=1
	s_wait_xcnt 0x0
	s_or_b32 exec_lo, exec_lo, s0
	v_add_nc_u32_e32 v8, 8, v9
                                        ; implicit-def: $vgpr12_vgpr13
	s_mov_b32 s0, exec_lo
	v_cmpx_gt_u32_e32 8, v14
	s_xor_b32 s4, exec_lo, s0
	s_cbranch_execz .LBB3_45
; %bb.40:                               ;   in Loop: Header=BB3_31 Depth=1
	v_mov_b64_e32 v[12:13], 0
	s_mov_b32 s5, exec_lo
	v_cmpx_ne_u32_e32 0, v14
	s_cbranch_execz .LBB3_44
; %bb.41:                               ;   in Loop: Header=BB3_31 Depth=1
	v_mov_b64_e32 v[12:13], 0
	s_mov_b64 s[0:1], 0
	s_mov_b32 s10, 0
	s_mov_b32 s11, 0
.LBB3_42:                               ;   Parent Loop BB3_31 Depth=1
                                        ; =>  This Inner Loop Header: Depth=2
	scratch_load_u8 v8, v9, s11
	v_mov_b32_e32 v17, s7
	s_wait_xcnt 0x0
	s_add_co_i32 s11, s11, 1
	s_delay_alu instid0(SALU_CYCLE_1) | instskip(SKIP_3) | instid1(VALU_DEP_1)
	v_cmp_eq_u32_e32 vcc_lo, s11, v14
	s_or_b32 s10, vcc_lo, s10
	s_wait_loadcnt 0x0
	v_and_b32_e32 v16, 0xffff, v8
	v_lshlrev_b64_e32 v[16:17], s0, v[16:17]
	s_add_nc_u64 s[0:1], s[0:1], 8
	s_delay_alu instid0(VALU_DEP_1) | instskip(NEXT) | instid1(VALU_DEP_2)
	v_or_b32_e32 v13, v17, v13
	v_or_b32_e32 v12, v16, v12
	s_and_not1_b32 exec_lo, exec_lo, s10
	s_cbranch_execnz .LBB3_42
; %bb.43:                               ;   in Loop: Header=BB3_31 Depth=1
	s_or_b32 exec_lo, exec_lo, s10
.LBB3_44:                               ;   in Loop: Header=BB3_31 Depth=1
	s_delay_alu instid0(SALU_CYCLE_1)
	s_or_b32 exec_lo, exec_lo, s5
	v_mov_b32_e32 v8, v9
                                        ; implicit-def: $vgpr14
.LBB3_45:                               ;   in Loop: Header=BB3_31 Depth=1
	s_or_saveexec_b32 s0, s4
	v_mov_b32_e32 v16, 0
	s_xor_b32 exec_lo, exec_lo, s0
	s_cbranch_execz .LBB3_47
; %bb.46:                               ;   in Loop: Header=BB3_31 Depth=1
	scratch_load_b64 v[12:13], v9, off
	v_add_nc_u32_e32 v16, -8, v14
.LBB3_47:                               ;   in Loop: Header=BB3_31 Depth=1
	s_wait_xcnt 0x0
	s_or_b32 exec_lo, exec_lo, s0
	v_add_nc_u32_e32 v9, 8, v8
	s_mov_b32 s0, exec_lo
	v_cmpx_gt_u32_e32 8, v16
	s_xor_b32 s4, exec_lo, s0
	s_cbranch_execz .LBB3_53
; %bb.48:                               ;   in Loop: Header=BB3_31 Depth=1
	v_mov_b64_e32 v[14:15], 0
	s_mov_b32 s5, exec_lo
	v_cmpx_ne_u32_e32 0, v16
	s_cbranch_execz .LBB3_52
; %bb.49:                               ;   in Loop: Header=BB3_31 Depth=1
	v_mov_b64_e32 v[14:15], 0
	s_mov_b64 s[0:1], 0
	s_mov_b32 s10, 0
	s_mov_b32 s11, 0
.LBB3_50:                               ;   Parent Loop BB3_31 Depth=1
                                        ; =>  This Inner Loop Header: Depth=2
	scratch_load_u8 v9, v8, s11
	v_mov_b32_e32 v19, s7
	s_wait_xcnt 0x0
	s_add_co_i32 s11, s11, 1
	s_delay_alu instid0(SALU_CYCLE_1) | instskip(SKIP_3) | instid1(VALU_DEP_1)
	v_cmp_eq_u32_e32 vcc_lo, s11, v16
	s_or_b32 s10, vcc_lo, s10
	s_wait_loadcnt 0x0
	v_and_b32_e32 v18, 0xffff, v9
	v_lshlrev_b64_e32 v[18:19], s0, v[18:19]
	s_add_nc_u64 s[0:1], s[0:1], 8
	s_delay_alu instid0(VALU_DEP_1) | instskip(NEXT) | instid1(VALU_DEP_2)
	v_or_b32_e32 v15, v19, v15
	v_or_b32_e32 v14, v18, v14
	s_and_not1_b32 exec_lo, exec_lo, s10
	s_cbranch_execnz .LBB3_50
; %bb.51:                               ;   in Loop: Header=BB3_31 Depth=1
	s_or_b32 exec_lo, exec_lo, s10
.LBB3_52:                               ;   in Loop: Header=BB3_31 Depth=1
	s_delay_alu instid0(SALU_CYCLE_1)
	s_or_b32 exec_lo, exec_lo, s5
	v_mov_b32_e32 v9, v8
                                        ; implicit-def: $vgpr16
.LBB3_53:                               ;   in Loop: Header=BB3_31 Depth=1
	s_or_saveexec_b32 s0, s4
	v_mov_b32_e32 v18, 0
	s_xor_b32 exec_lo, exec_lo, s0
	s_cbranch_execz .LBB3_55
; %bb.54:                               ;   in Loop: Header=BB3_31 Depth=1
	scratch_load_b64 v[14:15], v8, off
	v_add_nc_u32_e32 v18, -8, v16
.LBB3_55:                               ;   in Loop: Header=BB3_31 Depth=1
	s_wait_xcnt 0x0
	s_or_b32 exec_lo, exec_lo, s0
	v_add_nc_u32_e32 v8, 8, v9
                                        ; implicit-def: $vgpr16_vgpr17
	s_mov_b32 s0, exec_lo
	v_cmpx_gt_u32_e32 8, v18
	s_xor_b32 s4, exec_lo, s0
	s_cbranch_execz .LBB3_61
; %bb.56:                               ;   in Loop: Header=BB3_31 Depth=1
	v_mov_b64_e32 v[16:17], 0
	s_mov_b32 s5, exec_lo
	v_cmpx_ne_u32_e32 0, v18
	s_cbranch_execz .LBB3_60
; %bb.57:                               ;   in Loop: Header=BB3_31 Depth=1
	v_mov_b64_e32 v[16:17], 0
	s_mov_b64 s[0:1], 0
	s_mov_b32 s10, 0
	s_mov_b32 s11, 0
.LBB3_58:                               ;   Parent Loop BB3_31 Depth=1
                                        ; =>  This Inner Loop Header: Depth=2
	scratch_load_u8 v8, v9, s11
	v_mov_b32_e32 v21, s7
	s_wait_xcnt 0x0
	s_add_co_i32 s11, s11, 1
	s_delay_alu instid0(SALU_CYCLE_1) | instskip(SKIP_3) | instid1(VALU_DEP_1)
	v_cmp_eq_u32_e32 vcc_lo, s11, v18
	s_or_b32 s10, vcc_lo, s10
	s_wait_loadcnt 0x0
	v_and_b32_e32 v20, 0xffff, v8
	v_lshlrev_b64_e32 v[20:21], s0, v[20:21]
	s_add_nc_u64 s[0:1], s[0:1], 8
	s_delay_alu instid0(VALU_DEP_1) | instskip(NEXT) | instid1(VALU_DEP_2)
	v_or_b32_e32 v17, v21, v17
	v_or_b32_e32 v16, v20, v16
	s_and_not1_b32 exec_lo, exec_lo, s10
	s_cbranch_execnz .LBB3_58
; %bb.59:                               ;   in Loop: Header=BB3_31 Depth=1
	s_or_b32 exec_lo, exec_lo, s10
.LBB3_60:                               ;   in Loop: Header=BB3_31 Depth=1
	s_delay_alu instid0(SALU_CYCLE_1)
	s_or_b32 exec_lo, exec_lo, s5
	v_mov_b32_e32 v8, v9
                                        ; implicit-def: $vgpr18
.LBB3_61:                               ;   in Loop: Header=BB3_31 Depth=1
	s_or_saveexec_b32 s0, s4
	v_mov_b32_e32 v20, 0
	s_xor_b32 exec_lo, exec_lo, s0
	s_cbranch_execz .LBB3_63
; %bb.62:                               ;   in Loop: Header=BB3_31 Depth=1
	scratch_load_b64 v[16:17], v9, off
	v_add_nc_u32_e32 v20, -8, v18
.LBB3_63:                               ;   in Loop: Header=BB3_31 Depth=1
	s_wait_xcnt 0x0
	s_or_b32 exec_lo, exec_lo, s0
	v_add_nc_u32_e32 v9, 8, v8
	s_mov_b32 s0, exec_lo
	v_cmpx_gt_u32_e32 8, v20
	s_xor_b32 s4, exec_lo, s0
	s_cbranch_execz .LBB3_69
; %bb.64:                               ;   in Loop: Header=BB3_31 Depth=1
	v_mov_b64_e32 v[18:19], 0
	s_mov_b32 s5, exec_lo
	v_cmpx_ne_u32_e32 0, v20
	s_cbranch_execz .LBB3_68
; %bb.65:                               ;   in Loop: Header=BB3_31 Depth=1
	v_mov_b64_e32 v[18:19], 0
	s_mov_b64 s[0:1], 0
	s_mov_b32 s10, 0
	s_mov_b32 s11, 0
.LBB3_66:                               ;   Parent Loop BB3_31 Depth=1
                                        ; =>  This Inner Loop Header: Depth=2
	scratch_load_u8 v9, v8, s11
	v_mov_b32_e32 v23, s7
	s_wait_xcnt 0x0
	s_add_co_i32 s11, s11, 1
	s_delay_alu instid0(SALU_CYCLE_1) | instskip(SKIP_3) | instid1(VALU_DEP_1)
	v_cmp_eq_u32_e32 vcc_lo, s11, v20
	s_or_b32 s10, vcc_lo, s10
	s_wait_loadcnt 0x0
	v_and_b32_e32 v22, 0xffff, v9
	v_lshlrev_b64_e32 v[22:23], s0, v[22:23]
	s_add_nc_u64 s[0:1], s[0:1], 8
	s_delay_alu instid0(VALU_DEP_1) | instskip(NEXT) | instid1(VALU_DEP_2)
	v_or_b32_e32 v19, v23, v19
	v_or_b32_e32 v18, v22, v18
	s_and_not1_b32 exec_lo, exec_lo, s10
	s_cbranch_execnz .LBB3_66
; %bb.67:                               ;   in Loop: Header=BB3_31 Depth=1
	s_or_b32 exec_lo, exec_lo, s10
.LBB3_68:                               ;   in Loop: Header=BB3_31 Depth=1
	s_delay_alu instid0(SALU_CYCLE_1)
	s_or_b32 exec_lo, exec_lo, s5
	v_mov_b32_e32 v9, v8
                                        ; implicit-def: $vgpr20
.LBB3_69:                               ;   in Loop: Header=BB3_31 Depth=1
	s_or_saveexec_b32 s0, s4
	v_mov_b32_e32 v22, 0
	s_xor_b32 exec_lo, exec_lo, s0
	s_cbranch_execz .LBB3_71
; %bb.70:                               ;   in Loop: Header=BB3_31 Depth=1
	scratch_load_b64 v[18:19], v8, off
	v_add_nc_u32_e32 v22, -8, v20
.LBB3_71:                               ;   in Loop: Header=BB3_31 Depth=1
	s_wait_xcnt 0x0
	s_or_b32 exec_lo, exec_lo, s0
	v_add_nc_u32_e32 v8, 8, v9
                                        ; implicit-def: $vgpr20_vgpr21
	s_mov_b32 s0, exec_lo
	v_cmpx_gt_u32_e32 8, v22
	s_xor_b32 s4, exec_lo, s0
	s_cbranch_execz .LBB3_77
; %bb.72:                               ;   in Loop: Header=BB3_31 Depth=1
	v_mov_b64_e32 v[20:21], 0
	s_mov_b32 s5, exec_lo
	v_cmpx_ne_u32_e32 0, v22
	s_cbranch_execz .LBB3_76
; %bb.73:                               ;   in Loop: Header=BB3_31 Depth=1
	v_mov_b64_e32 v[20:21], 0
	s_mov_b64 s[0:1], 0
	s_mov_b32 s10, 0
	s_mov_b32 s11, 0
.LBB3_74:                               ;   Parent Loop BB3_31 Depth=1
                                        ; =>  This Inner Loop Header: Depth=2
	scratch_load_u8 v8, v9, s11
	v_mov_b32_e32 v25, s7
	s_wait_xcnt 0x0
	s_add_co_i32 s11, s11, 1
	s_delay_alu instid0(SALU_CYCLE_1) | instskip(SKIP_3) | instid1(VALU_DEP_1)
	v_cmp_eq_u32_e32 vcc_lo, s11, v22
	s_or_b32 s10, vcc_lo, s10
	s_wait_loadcnt 0x0
	v_and_b32_e32 v24, 0xffff, v8
	v_lshlrev_b64_e32 v[24:25], s0, v[24:25]
	s_add_nc_u64 s[0:1], s[0:1], 8
	s_delay_alu instid0(VALU_DEP_1) | instskip(NEXT) | instid1(VALU_DEP_2)
	v_or_b32_e32 v21, v25, v21
	v_or_b32_e32 v20, v24, v20
	s_and_not1_b32 exec_lo, exec_lo, s10
	s_cbranch_execnz .LBB3_74
; %bb.75:                               ;   in Loop: Header=BB3_31 Depth=1
	s_or_b32 exec_lo, exec_lo, s10
.LBB3_76:                               ;   in Loop: Header=BB3_31 Depth=1
	s_delay_alu instid0(SALU_CYCLE_1)
	s_or_b32 exec_lo, exec_lo, s5
	v_mov_b32_e32 v8, v9
                                        ; implicit-def: $vgpr22
.LBB3_77:                               ;   in Loop: Header=BB3_31 Depth=1
	s_or_saveexec_b32 s0, s4
	v_mov_b32_e32 v24, 0
	s_xor_b32 exec_lo, exec_lo, s0
	s_cbranch_execz .LBB3_79
; %bb.78:                               ;   in Loop: Header=BB3_31 Depth=1
	scratch_load_b64 v[20:21], v9, off
	v_add_nc_u32_e32 v24, -8, v22
.LBB3_79:                               ;   in Loop: Header=BB3_31 Depth=1
	s_wait_xcnt 0x0
	s_or_b32 exec_lo, exec_lo, s0
	s_delay_alu instid0(SALU_CYCLE_1) | instskip(NEXT) | instid1(VALU_DEP_1)
	s_mov_b32 s0, exec_lo
	v_cmpx_gt_u32_e32 8, v24
	s_xor_b32 s4, exec_lo, s0
	s_cbranch_execz .LBB3_85
; %bb.80:                               ;   in Loop: Header=BB3_31 Depth=1
	v_mov_b64_e32 v[22:23], 0
	s_mov_b32 s5, exec_lo
	v_cmpx_ne_u32_e32 0, v24
	s_cbranch_execz .LBB3_84
; %bb.81:                               ;   in Loop: Header=BB3_31 Depth=1
	v_mov_b64_e32 v[22:23], 0
	s_mov_b64 s[0:1], 0
	s_mov_b32 s10, 0
.LBB3_82:                               ;   Parent Loop BB3_31 Depth=1
                                        ; =>  This Inner Loop Header: Depth=2
	scratch_load_u8 v9, v8, off
	v_dual_mov_b32 v27, s7 :: v_dual_add_nc_u32 v24, -1, v24
	s_delay_alu instid0(VALU_DEP_1) | instskip(SKIP_3) | instid1(VALU_DEP_1)
	v_cmp_eq_u32_e32 vcc_lo, 0, v24
	s_or_b32 s10, vcc_lo, s10
	s_wait_loadcnt 0x0
	v_and_b32_e32 v26, 0xffff, v9
	v_lshlrev_b64_e32 v[26:27], s0, v[26:27]
	s_wait_xcnt 0x0
	v_add_nc_u32_e32 v8, 1, v8
	s_add_nc_u64 s[0:1], s[0:1], 8
	s_delay_alu instid0(VALU_DEP_2) | instskip(NEXT) | instid1(VALU_DEP_3)
	v_or_b32_e32 v23, v27, v23
	v_or_b32_e32 v22, v26, v22
	s_and_not1_b32 exec_lo, exec_lo, s10
	s_cbranch_execnz .LBB3_82
; %bb.83:                               ;   in Loop: Header=BB3_31 Depth=1
	s_or_b32 exec_lo, exec_lo, s10
.LBB3_84:                               ;   in Loop: Header=BB3_31 Depth=1
	s_delay_alu instid0(SALU_CYCLE_1)
	s_or_b32 exec_lo, exec_lo, s5
                                        ; implicit-def: $vgpr8
.LBB3_85:                               ;   in Loop: Header=BB3_31 Depth=1
	s_and_not1_saveexec_b32 s0, s4
	s_cbranch_execz .LBB3_87
; %bb.86:                               ;   in Loop: Header=BB3_31 Depth=1
	scratch_load_b64 v[22:23], v8, off
.LBB3_87:                               ;   in Loop: Header=BB3_31 Depth=1
	s_wait_xcnt 0x0
	s_or_b32 exec_lo, exec_lo, s0
	v_readfirstlane_b32 s0, v48
	v_mov_b64_e32 v[8:9], 0
	s_delay_alu instid0(VALU_DEP_2)
	v_cmp_eq_u32_e64 s0, s0, v48
	s_and_saveexec_b32 s1, s0
	s_cbranch_execz .LBB3_93
; %bb.88:                               ;   in Loop: Header=BB3_31 Depth=1
	global_load_b64 v[26:27], v31, s[2:3] offset:24 scope:SCOPE_SYS
	s_wait_loadcnt 0x0
	global_inv scope:SCOPE_SYS
	s_clause 0x1
	global_load_b64 v[8:9], v31, s[2:3] offset:40
	global_load_b64 v[24:25], v31, s[2:3]
	s_mov_b32 s4, exec_lo
	s_wait_loadcnt 0x1
	v_and_b32_e32 v8, v8, v26
	v_and_b32_e32 v9, v9, v27
	s_delay_alu instid0(VALU_DEP_1) | instskip(SKIP_1) | instid1(VALU_DEP_1)
	v_mul_u64_e32 v[8:9], 24, v[8:9]
	s_wait_loadcnt 0x0
	v_add_nc_u64_e32 v[8:9], v[24:25], v[8:9]
	global_load_b64 v[24:25], v[8:9], off scope:SCOPE_SYS
	s_wait_xcnt 0x0
	s_wait_loadcnt 0x0
	global_atomic_cmpswap_b64 v[8:9], v31, v[24:27], s[2:3] offset:24 th:TH_ATOMIC_RETURN scope:SCOPE_SYS
	s_wait_loadcnt 0x0
	global_inv scope:SCOPE_SYS
	s_wait_xcnt 0x0
	v_cmpx_ne_u64_e64 v[8:9], v[26:27]
	s_cbranch_execz .LBB3_92
; %bb.89:                               ;   in Loop: Header=BB3_31 Depth=1
	s_mov_b32 s5, 0
.LBB3_90:                               ;   Parent Loop BB3_31 Depth=1
                                        ; =>  This Inner Loop Header: Depth=2
	s_sleep 1
	s_clause 0x1
	global_load_b64 v[24:25], v31, s[2:3] offset:40
	global_load_b64 v[36:37], v31, s[2:3]
	v_mov_b64_e32 v[26:27], v[8:9]
	s_wait_loadcnt 0x1
	s_delay_alu instid0(VALU_DEP_1) | instskip(NEXT) | instid1(VALU_DEP_2)
	v_and_b32_e32 v8, v24, v26
	v_and_b32_e32 v24, v25, v27
	s_wait_loadcnt 0x0
	s_delay_alu instid0(VALU_DEP_2) | instskip(NEXT) | instid1(VALU_DEP_1)
	v_mad_nc_u64_u32 v[8:9], v8, 24, v[36:37]
	v_mad_u32 v9, v24, 24, v9
	global_load_b64 v[24:25], v[8:9], off scope:SCOPE_SYS
	s_wait_xcnt 0x0
	s_wait_loadcnt 0x0
	global_atomic_cmpswap_b64 v[8:9], v31, v[24:27], s[2:3] offset:24 th:TH_ATOMIC_RETURN scope:SCOPE_SYS
	s_wait_loadcnt 0x0
	global_inv scope:SCOPE_SYS
	v_cmp_eq_u64_e32 vcc_lo, v[8:9], v[26:27]
	s_or_b32 s5, vcc_lo, s5
	s_wait_xcnt 0x0
	s_and_not1_b32 exec_lo, exec_lo, s5
	s_cbranch_execnz .LBB3_90
; %bb.91:                               ;   in Loop: Header=BB3_31 Depth=1
	s_or_b32 exec_lo, exec_lo, s5
.LBB3_92:                               ;   in Loop: Header=BB3_31 Depth=1
	s_delay_alu instid0(SALU_CYCLE_1)
	s_or_b32 exec_lo, exec_lo, s4
.LBB3_93:                               ;   in Loop: Header=BB3_31 Depth=1
	s_delay_alu instid0(SALU_CYCLE_1)
	s_or_b32 exec_lo, exec_lo, s1
	s_clause 0x1
	global_load_b64 v[36:37], v31, s[2:3] offset:40
	global_load_b128 v[24:27], v31, s[2:3]
	v_readfirstlane_b32 s4, v8
	v_readfirstlane_b32 s5, v9
	s_mov_b32 s1, exec_lo
	s_wait_loadcnt 0x1
	v_and_b32_e32 v38, s4, v36
	v_and_b32_e32 v39, s5, v37
	s_delay_alu instid0(VALU_DEP_1) | instskip(SKIP_1) | instid1(VALU_DEP_1)
	v_mul_u64_e32 v[8:9], 24, v[38:39]
	s_wait_loadcnt 0x0
	v_add_nc_u64_e32 v[36:37], v[24:25], v[8:9]
	s_wait_xcnt 0x0
	s_and_saveexec_b32 s10, s0
	s_cbranch_execz .LBB3_95
; %bb.94:                               ;   in Loop: Header=BB3_31 Depth=1
	v_dual_mov_b32 v8, s1 :: v_dual_mov_b32 v9, v31
	global_store_b128 v[36:37], v[8:11], off offset:8
.LBB3_95:                               ;   in Loop: Header=BB3_31 Depth=1
	s_wait_xcnt 0x0
	s_or_b32 exec_lo, exec_lo, s10
	v_cmp_gt_u64_e32 vcc_lo, 57, v[32:33]
	v_lshlrev_b64_e32 v[8:9], 12, v[38:39]
	v_and_b32_e32 v0, 0xffffff1f, v0
	v_lshl_add_u32 v39, v34, 2, 28
	v_cndmask_b32_e32 v38, 0, v28, vcc_lo
	s_delay_alu instid0(VALU_DEP_4) | instskip(NEXT) | instid1(VALU_DEP_2)
	v_add_nc_u64_e32 v[8:9], v[26:27], v[8:9]
	v_or_b32_e32 v0, v0, v38
	s_delay_alu instid0(VALU_DEP_2) | instskip(NEXT) | instid1(VALU_DEP_3)
	v_readfirstlane_b32 s10, v8
	v_readfirstlane_b32 s11, v9
	s_delay_alu instid0(VALU_DEP_3)
	v_and_or_b32 v0, 0x1e0, v39, v0
	s_clause 0x3
	global_store_b128 v30, v[0:3], s[10:11]
	global_store_b128 v30, v[12:15], s[10:11] offset:16
	global_store_b128 v30, v[16:19], s[10:11] offset:32
	global_store_b128 v30, v[20:23], s[10:11] offset:48
	s_wait_xcnt 0x0
	s_and_saveexec_b32 s1, s0
	s_cbranch_execz .LBB3_103
; %bb.96:                               ;   in Loop: Header=BB3_31 Depth=1
	s_clause 0x1
	global_load_b64 v[16:17], v31, s[2:3] offset:32 scope:SCOPE_SYS
	global_load_b64 v[0:1], v31, s[2:3] offset:40
	s_mov_b32 s10, exec_lo
	v_dual_mov_b32 v14, s4 :: v_dual_mov_b32 v15, s5
	s_wait_loadcnt 0x0
	v_and_b32_e32 v1, s5, v1
	v_and_b32_e32 v0, s4, v0
	s_delay_alu instid0(VALU_DEP_1) | instskip(NEXT) | instid1(VALU_DEP_1)
	v_mul_u64_e32 v[0:1], 24, v[0:1]
	v_add_nc_u64_e32 v[12:13], v[24:25], v[0:1]
	global_store_b64 v[12:13], v[16:17], off
	global_wb scope:SCOPE_SYS
	s_wait_storecnt 0x0
	s_wait_xcnt 0x0
	global_atomic_cmpswap_b64 v[2:3], v31, v[14:17], s[2:3] offset:32 th:TH_ATOMIC_RETURN scope:SCOPE_SYS
	s_wait_loadcnt 0x0
	v_cmpx_ne_u64_e64 v[2:3], v[16:17]
	s_cbranch_execz .LBB3_99
; %bb.97:                               ;   in Loop: Header=BB3_31 Depth=1
	s_mov_b32 s11, 0
.LBB3_98:                               ;   Parent Loop BB3_31 Depth=1
                                        ; =>  This Inner Loop Header: Depth=2
	v_dual_mov_b32 v0, s4 :: v_dual_mov_b32 v1, s5
	s_sleep 1
	global_store_b64 v[12:13], v[2:3], off
	global_wb scope:SCOPE_SYS
	s_wait_storecnt 0x0
	s_wait_xcnt 0x0
	global_atomic_cmpswap_b64 v[0:1], v31, v[0:3], s[2:3] offset:32 th:TH_ATOMIC_RETURN scope:SCOPE_SYS
	s_wait_loadcnt 0x0
	v_cmp_eq_u64_e32 vcc_lo, v[0:1], v[2:3]
	v_mov_b64_e32 v[2:3], v[0:1]
	s_or_b32 s11, vcc_lo, s11
	s_delay_alu instid0(SALU_CYCLE_1)
	s_and_not1_b32 exec_lo, exec_lo, s11
	s_cbranch_execnz .LBB3_98
.LBB3_99:                               ;   in Loop: Header=BB3_31 Depth=1
	s_or_b32 exec_lo, exec_lo, s10
	global_load_b64 v[0:1], v31, s[2:3] offset:16
	s_mov_b32 s11, exec_lo
	s_mov_b32 s10, exec_lo
	v_mbcnt_lo_u32_b32 v2, s11, 0
	s_wait_xcnt 0x0
	s_delay_alu instid0(VALU_DEP_1)
	v_cmpx_eq_u32_e32 0, v2
	s_cbranch_execz .LBB3_101
; %bb.100:                              ;   in Loop: Header=BB3_31 Depth=1
	s_bcnt1_i32_b32 s11, s11
	s_delay_alu instid0(SALU_CYCLE_1)
	v_dual_mov_b32 v3, v31 :: v_dual_mov_b32 v2, s11
	global_wb scope:SCOPE_SYS
	s_wait_loadcnt 0x0
	s_wait_storecnt 0x0
	global_atomic_add_u64 v[0:1], v[2:3], off offset:8 scope:SCOPE_SYS
.LBB3_101:                              ;   in Loop: Header=BB3_31 Depth=1
	s_wait_xcnt 0x0
	s_or_b32 exec_lo, exec_lo, s10
	s_wait_loadcnt 0x0
	global_load_b64 v[2:3], v[0:1], off offset:16
	s_wait_loadcnt 0x0
	v_cmp_eq_u64_e32 vcc_lo, 0, v[2:3]
	s_cbranch_vccnz .LBB3_103
; %bb.102:                              ;   in Loop: Header=BB3_31 Depth=1
	global_load_b32 v0, v[0:1], off offset:24
	s_wait_xcnt 0x0
	v_mov_b32_e32 v1, v31
	s_wait_loadcnt 0x0
	v_readfirstlane_b32 s10, v0
	global_wb scope:SCOPE_SYS
	s_wait_storecnt 0x0
	global_store_b64 v[2:3], v[0:1], off scope:SCOPE_SYS
	s_and_b32 m0, s10, 0xffffff
	s_sendmsg sendmsg(MSG_INTERRUPT)
.LBB3_103:                              ;   in Loop: Header=BB3_31 Depth=1
	s_wait_xcnt 0x0
	s_or_b32 exec_lo, exec_lo, s1
	v_add_nc_u64_e32 v[0:1], v[8:9], v[30:31]
	s_branch .LBB3_107
.LBB3_104:                              ;   in Loop: Header=BB3_107 Depth=2
	s_wait_xcnt 0x0
	s_or_b32 exec_lo, exec_lo, s1
	s_delay_alu instid0(VALU_DEP_1)
	v_readfirstlane_b32 s1, v2
	s_cmp_eq_u32 s1, 0
	s_cbranch_scc1 .LBB3_106
; %bb.105:                              ;   in Loop: Header=BB3_107 Depth=2
	s_sleep 1
	s_cbranch_execnz .LBB3_107
	s_branch .LBB3_109
.LBB3_106:                              ;   in Loop: Header=BB3_31 Depth=1
	s_branch .LBB3_109
.LBB3_107:                              ;   Parent Loop BB3_31 Depth=1
                                        ; =>  This Inner Loop Header: Depth=2
	v_mov_b32_e32 v2, 1
	s_and_saveexec_b32 s1, s0
	s_cbranch_execz .LBB3_104
; %bb.108:                              ;   in Loop: Header=BB3_107 Depth=2
	global_load_b32 v2, v[36:37], off offset:20 scope:SCOPE_SYS
	s_wait_loadcnt 0x0
	global_inv scope:SCOPE_SYS
	v_and_b32_e32 v2, 1, v2
	s_branch .LBB3_104
.LBB3_109:                              ;   in Loop: Header=BB3_31 Depth=1
	global_load_b64 v[0:1], v[0:1], off
	s_wait_xcnt 0x0
	s_and_saveexec_b32 s10, s0
	s_cbranch_execz .LBB3_30
; %bb.110:                              ;   in Loop: Header=BB3_31 Depth=1
	s_clause 0x2
	global_load_b64 v[2:3], v31, s[2:3] offset:40
	global_load_b64 v[16:17], v31, s[2:3] offset:24 scope:SCOPE_SYS
	global_load_b64 v[8:9], v31, s[2:3]
	s_wait_loadcnt 0x2
	v_readfirstlane_b32 s12, v2
	v_readfirstlane_b32 s13, v3
	s_add_nc_u64 s[0:1], s[12:13], 1
	s_delay_alu instid0(SALU_CYCLE_1) | instskip(NEXT) | instid1(SALU_CYCLE_1)
	s_add_nc_u64 s[4:5], s[0:1], s[4:5]
	s_cmp_eq_u64 s[4:5], 0
	s_cselect_b32 s1, s1, s5
	s_cselect_b32 s0, s0, s4
	s_delay_alu instid0(SALU_CYCLE_1) | instskip(SKIP_1) | instid1(SALU_CYCLE_1)
	v_dual_mov_b32 v15, s1 :: v_dual_mov_b32 v14, s0
	s_and_b64 s[4:5], s[0:1], s[12:13]
	s_mul_u64 s[4:5], s[4:5], 24
	s_wait_loadcnt 0x0
	v_add_nc_u64_e32 v[2:3], s[4:5], v[8:9]
	global_store_b64 v[2:3], v[16:17], off
	global_wb scope:SCOPE_SYS
	s_wait_storecnt 0x0
	s_wait_xcnt 0x0
	global_atomic_cmpswap_b64 v[14:15], v31, v[14:17], s[2:3] offset:24 th:TH_ATOMIC_RETURN scope:SCOPE_SYS
	s_wait_loadcnt 0x0
	v_cmp_ne_u64_e32 vcc_lo, v[14:15], v[16:17]
	s_and_b32 exec_lo, exec_lo, vcc_lo
	s_cbranch_execz .LBB3_30
; %bb.111:                              ;   in Loop: Header=BB3_31 Depth=1
	s_mov_b32 s4, 0
.LBB3_112:                              ;   Parent Loop BB3_31 Depth=1
                                        ; =>  This Inner Loop Header: Depth=2
	v_dual_mov_b32 v12, s0 :: v_dual_mov_b32 v13, s1
	s_sleep 1
	global_store_b64 v[2:3], v[14:15], off
	global_wb scope:SCOPE_SYS
	s_wait_storecnt 0x0
	s_wait_xcnt 0x0
	global_atomic_cmpswap_b64 v[8:9], v31, v[12:15], s[2:3] offset:24 th:TH_ATOMIC_RETURN scope:SCOPE_SYS
	s_wait_loadcnt 0x0
	v_cmp_eq_u64_e32 vcc_lo, v[8:9], v[14:15]
	v_mov_b64_e32 v[14:15], v[8:9]
	s_or_b32 s4, vcc_lo, s4
	s_delay_alu instid0(SALU_CYCLE_1)
	s_and_not1_b32 exec_lo, exec_lo, s4
	s_cbranch_execnz .LBB3_112
	s_branch .LBB3_30
.LBB3_113:
                                        ; implicit-def: $vgpr0_vgpr1
	s_cbranch_execnz .LBB3_193
.LBB3_114:
	s_get_pc_i64 s[4:5]
	s_add_nc_u64 s[4:5], s[4:5], .str.5@rel64+4
	s_delay_alu instid0(SALU_CYCLE_1)
	s_cmp_lg_u64 s[4:5], 0
	s_cbranch_scc0 .LBB3_221
.LBB3_115:
	v_mov_b64_e32 v[12:13], 0x100000002
	s_get_pc_i64 s[0:1]
	s_add_nc_u64 s[0:1], s[0:1], .str.5@rel64+80
	s_wait_loadcnt 0x0
	v_dual_mov_b32 v11, 0 :: v_dual_bitop2_b32 v2, 2, v0 bitop3:0x40
	v_dual_mov_b32 v7, v1 :: v_dual_bitop2_b32 v6, -3, v0 bitop3:0x40
	s_sub_co_i32 s6, s0, s4
	s_delay_alu instid0(SALU_CYCLE_1)
	s_ashr_i32 s7, s6, 31
	s_branch .LBB3_117
.LBB3_116:                              ;   in Loop: Header=BB3_117 Depth=1
	s_or_b32 exec_lo, exec_lo, s14
	s_sub_nc_u64 s[6:7], s[6:7], s[10:11]
	s_add_nc_u64 s[4:5], s[4:5], s[10:11]
	s_cmp_lg_u64 s[6:7], 0
	s_cbranch_scc0 .LBB3_215
.LBB3_117:                              ; =>This Loop Header: Depth=1
                                        ;     Child Loop BB3_120 Depth 2
                                        ;     Child Loop BB3_127 Depth 2
	;; [unrolled: 1-line block ×11, first 2 shown]
	v_min_u64 v[8:9], s[6:7], 56
	v_cmp_gt_u64_e64 s0, s[6:7], 7
	s_and_b32 vcc_lo, exec_lo, s0
	v_readfirstlane_b32 s10, v8
	v_readfirstlane_b32 s11, v9
	s_cbranch_vccnz .LBB3_122
; %bb.118:                              ;   in Loop: Header=BB3_117 Depth=1
	v_mov_b64_e32 v[8:9], 0
	s_cmp_eq_u64 s[6:7], 0
	s_cbranch_scc1 .LBB3_121
; %bb.119:                              ;   in Loop: Header=BB3_117 Depth=1
	s_mov_b64 s[0:1], 0
	s_mov_b64 s[12:13], 0
.LBB3_120:                              ;   Parent Loop BB3_117 Depth=1
                                        ; =>  This Inner Loop Header: Depth=2
	s_wait_xcnt 0x0
	s_add_nc_u64 s[14:15], s[4:5], s[12:13]
	s_add_nc_u64 s[12:13], s[12:13], 1
	global_load_u8 v3, v11, s[14:15]
	s_cmp_lg_u32 s10, s12
	s_wait_loadcnt 0x0
	v_and_b32_e32 v10, 0xffff, v3
	s_delay_alu instid0(VALU_DEP_1) | instskip(SKIP_1) | instid1(VALU_DEP_1)
	v_lshlrev_b64_e32 v[14:15], s0, v[10:11]
	s_add_nc_u64 s[0:1], s[0:1], 8
	v_or_b32_e32 v8, v14, v8
	s_delay_alu instid0(VALU_DEP_2)
	v_or_b32_e32 v9, v15, v9
	s_cbranch_scc1 .LBB3_120
.LBB3_121:                              ;   in Loop: Header=BB3_117 Depth=1
	s_mov_b64 s[12:13], s[4:5]
	s_mov_b32 s16, 0
	s_cbranch_execz .LBB3_123
	s_branch .LBB3_124
.LBB3_122:                              ;   in Loop: Header=BB3_117 Depth=1
	s_add_nc_u64 s[12:13], s[4:5], 8
	s_mov_b32 s16, 0
.LBB3_123:                              ;   in Loop: Header=BB3_117 Depth=1
	global_load_b64 v[8:9], v11, s[4:5]
	s_add_co_i32 s16, s10, -8
.LBB3_124:                              ;   in Loop: Header=BB3_117 Depth=1
	s_delay_alu instid0(SALU_CYCLE_1)
	s_cmp_gt_u32 s16, 7
	s_cbranch_scc1 .LBB3_129
; %bb.125:                              ;   in Loop: Header=BB3_117 Depth=1
	v_mov_b64_e32 v[14:15], 0
	s_cmp_eq_u32 s16, 0
	s_cbranch_scc1 .LBB3_128
; %bb.126:                              ;   in Loop: Header=BB3_117 Depth=1
	s_mov_b64 s[0:1], 0
	s_wait_xcnt 0x0
	s_mov_b64 s[14:15], 0
.LBB3_127:                              ;   Parent Loop BB3_117 Depth=1
                                        ; =>  This Inner Loop Header: Depth=2
	s_wait_xcnt 0x0
	s_add_nc_u64 s[18:19], s[12:13], s[14:15]
	s_add_nc_u64 s[14:15], s[14:15], 1
	global_load_u8 v3, v11, s[18:19]
	s_cmp_lg_u32 s16, s14
	s_wait_loadcnt 0x0
	v_and_b32_e32 v10, 0xffff, v3
	s_delay_alu instid0(VALU_DEP_1) | instskip(SKIP_1) | instid1(VALU_DEP_1)
	v_lshlrev_b64_e32 v[16:17], s0, v[10:11]
	s_add_nc_u64 s[0:1], s[0:1], 8
	v_or_b32_e32 v14, v16, v14
	s_delay_alu instid0(VALU_DEP_2)
	v_or_b32_e32 v15, v17, v15
	s_cbranch_scc1 .LBB3_127
.LBB3_128:                              ;   in Loop: Header=BB3_117 Depth=1
	s_wait_xcnt 0x0
	s_mov_b64 s[0:1], s[12:13]
	s_mov_b32 s17, 0
	s_cbranch_execz .LBB3_130
	s_branch .LBB3_131
.LBB3_129:                              ;   in Loop: Header=BB3_117 Depth=1
	s_add_nc_u64 s[0:1], s[12:13], 8
	s_wait_xcnt 0x0
                                        ; implicit-def: $vgpr14_vgpr15
	s_mov_b32 s17, 0
.LBB3_130:                              ;   in Loop: Header=BB3_117 Depth=1
	global_load_b64 v[14:15], v11, s[12:13]
	s_add_co_i32 s17, s16, -8
.LBB3_131:                              ;   in Loop: Header=BB3_117 Depth=1
	s_delay_alu instid0(SALU_CYCLE_1)
	s_cmp_gt_u32 s17, 7
	s_cbranch_scc1 .LBB3_136
; %bb.132:                              ;   in Loop: Header=BB3_117 Depth=1
	v_mov_b64_e32 v[16:17], 0
	s_cmp_eq_u32 s17, 0
	s_cbranch_scc1 .LBB3_135
; %bb.133:                              ;   in Loop: Header=BB3_117 Depth=1
	s_wait_xcnt 0x0
	s_mov_b64 s[12:13], 0
	s_mov_b64 s[14:15], 0
.LBB3_134:                              ;   Parent Loop BB3_117 Depth=1
                                        ; =>  This Inner Loop Header: Depth=2
	s_wait_xcnt 0x0
	s_add_nc_u64 s[18:19], s[0:1], s[14:15]
	s_add_nc_u64 s[14:15], s[14:15], 1
	global_load_u8 v3, v11, s[18:19]
	s_cmp_lg_u32 s17, s14
	s_wait_loadcnt 0x0
	v_and_b32_e32 v10, 0xffff, v3
	s_delay_alu instid0(VALU_DEP_1) | instskip(SKIP_1) | instid1(VALU_DEP_1)
	v_lshlrev_b64_e32 v[18:19], s12, v[10:11]
	s_add_nc_u64 s[12:13], s[12:13], 8
	v_or_b32_e32 v16, v18, v16
	s_delay_alu instid0(VALU_DEP_2)
	v_or_b32_e32 v17, v19, v17
	s_cbranch_scc1 .LBB3_134
.LBB3_135:                              ;   in Loop: Header=BB3_117 Depth=1
	s_wait_xcnt 0x0
	s_mov_b64 s[12:13], s[0:1]
	s_mov_b32 s16, 0
	s_cbranch_execz .LBB3_137
	s_branch .LBB3_138
.LBB3_136:                              ;   in Loop: Header=BB3_117 Depth=1
	s_wait_xcnt 0x0
	s_add_nc_u64 s[12:13], s[0:1], 8
	s_mov_b32 s16, 0
.LBB3_137:                              ;   in Loop: Header=BB3_117 Depth=1
	global_load_b64 v[16:17], v11, s[0:1]
	s_add_co_i32 s16, s17, -8
.LBB3_138:                              ;   in Loop: Header=BB3_117 Depth=1
	s_delay_alu instid0(SALU_CYCLE_1)
	s_cmp_gt_u32 s16, 7
	s_cbranch_scc1 .LBB3_143
; %bb.139:                              ;   in Loop: Header=BB3_117 Depth=1
	v_mov_b64_e32 v[18:19], 0
	s_cmp_eq_u32 s16, 0
	s_cbranch_scc1 .LBB3_142
; %bb.140:                              ;   in Loop: Header=BB3_117 Depth=1
	s_wait_xcnt 0x0
	s_mov_b64 s[0:1], 0
	s_mov_b64 s[14:15], 0
.LBB3_141:                              ;   Parent Loop BB3_117 Depth=1
                                        ; =>  This Inner Loop Header: Depth=2
	s_wait_xcnt 0x0
	s_add_nc_u64 s[18:19], s[12:13], s[14:15]
	s_add_nc_u64 s[14:15], s[14:15], 1
	global_load_u8 v3, v11, s[18:19]
	s_cmp_lg_u32 s16, s14
	s_wait_loadcnt 0x0
	v_and_b32_e32 v10, 0xffff, v3
	s_delay_alu instid0(VALU_DEP_1) | instskip(SKIP_1) | instid1(VALU_DEP_1)
	v_lshlrev_b64_e32 v[20:21], s0, v[10:11]
	s_add_nc_u64 s[0:1], s[0:1], 8
	v_or_b32_e32 v18, v20, v18
	s_delay_alu instid0(VALU_DEP_2)
	v_or_b32_e32 v19, v21, v19
	s_cbranch_scc1 .LBB3_141
.LBB3_142:                              ;   in Loop: Header=BB3_117 Depth=1
	s_wait_xcnt 0x0
	s_mov_b64 s[0:1], s[12:13]
	s_mov_b32 s17, 0
	s_cbranch_execz .LBB3_144
	s_branch .LBB3_145
.LBB3_143:                              ;   in Loop: Header=BB3_117 Depth=1
	s_wait_xcnt 0x0
	s_add_nc_u64 s[0:1], s[12:13], 8
                                        ; implicit-def: $vgpr18_vgpr19
	s_mov_b32 s17, 0
.LBB3_144:                              ;   in Loop: Header=BB3_117 Depth=1
	global_load_b64 v[18:19], v11, s[12:13]
	s_add_co_i32 s17, s16, -8
.LBB3_145:                              ;   in Loop: Header=BB3_117 Depth=1
	s_delay_alu instid0(SALU_CYCLE_1)
	s_cmp_gt_u32 s17, 7
	s_cbranch_scc1 .LBB3_150
; %bb.146:                              ;   in Loop: Header=BB3_117 Depth=1
	v_mov_b64_e32 v[20:21], 0
	s_cmp_eq_u32 s17, 0
	s_cbranch_scc1 .LBB3_149
; %bb.147:                              ;   in Loop: Header=BB3_117 Depth=1
	s_wait_xcnt 0x0
	s_mov_b64 s[12:13], 0
	s_mov_b64 s[14:15], 0
.LBB3_148:                              ;   Parent Loop BB3_117 Depth=1
                                        ; =>  This Inner Loop Header: Depth=2
	s_wait_xcnt 0x0
	s_add_nc_u64 s[18:19], s[0:1], s[14:15]
	s_add_nc_u64 s[14:15], s[14:15], 1
	global_load_u8 v3, v11, s[18:19]
	s_cmp_lg_u32 s17, s14
	s_wait_loadcnt 0x0
	v_and_b32_e32 v10, 0xffff, v3
	s_delay_alu instid0(VALU_DEP_1) | instskip(SKIP_1) | instid1(VALU_DEP_1)
	v_lshlrev_b64_e32 v[22:23], s12, v[10:11]
	s_add_nc_u64 s[12:13], s[12:13], 8
	v_or_b32_e32 v20, v22, v20
	s_delay_alu instid0(VALU_DEP_2)
	v_or_b32_e32 v21, v23, v21
	s_cbranch_scc1 .LBB3_148
.LBB3_149:                              ;   in Loop: Header=BB3_117 Depth=1
	s_wait_xcnt 0x0
	s_mov_b64 s[12:13], s[0:1]
	s_mov_b32 s16, 0
	s_cbranch_execz .LBB3_151
	s_branch .LBB3_152
.LBB3_150:                              ;   in Loop: Header=BB3_117 Depth=1
	s_wait_xcnt 0x0
	s_add_nc_u64 s[12:13], s[0:1], 8
	s_mov_b32 s16, 0
.LBB3_151:                              ;   in Loop: Header=BB3_117 Depth=1
	global_load_b64 v[20:21], v11, s[0:1]
	s_add_co_i32 s16, s17, -8
.LBB3_152:                              ;   in Loop: Header=BB3_117 Depth=1
	s_delay_alu instid0(SALU_CYCLE_1)
	s_cmp_gt_u32 s16, 7
	s_cbranch_scc1 .LBB3_157
; %bb.153:                              ;   in Loop: Header=BB3_117 Depth=1
	v_mov_b64_e32 v[22:23], 0
	s_cmp_eq_u32 s16, 0
	s_cbranch_scc1 .LBB3_156
; %bb.154:                              ;   in Loop: Header=BB3_117 Depth=1
	s_wait_xcnt 0x0
	s_mov_b64 s[0:1], 0
	s_mov_b64 s[14:15], 0
.LBB3_155:                              ;   Parent Loop BB3_117 Depth=1
                                        ; =>  This Inner Loop Header: Depth=2
	s_wait_xcnt 0x0
	s_add_nc_u64 s[18:19], s[12:13], s[14:15]
	s_add_nc_u64 s[14:15], s[14:15], 1
	global_load_u8 v3, v11, s[18:19]
	s_cmp_lg_u32 s16, s14
	s_wait_loadcnt 0x0
	v_and_b32_e32 v10, 0xffff, v3
	s_delay_alu instid0(VALU_DEP_1) | instskip(SKIP_1) | instid1(VALU_DEP_1)
	v_lshlrev_b64_e32 v[24:25], s0, v[10:11]
	s_add_nc_u64 s[0:1], s[0:1], 8
	v_or_b32_e32 v22, v24, v22
	s_delay_alu instid0(VALU_DEP_2)
	v_or_b32_e32 v23, v25, v23
	s_cbranch_scc1 .LBB3_155
.LBB3_156:                              ;   in Loop: Header=BB3_117 Depth=1
	s_wait_xcnt 0x0
	s_mov_b64 s[0:1], s[12:13]
	s_mov_b32 s17, 0
	s_cbranch_execz .LBB3_158
	s_branch .LBB3_159
.LBB3_157:                              ;   in Loop: Header=BB3_117 Depth=1
	s_wait_xcnt 0x0
	s_add_nc_u64 s[0:1], s[12:13], 8
                                        ; implicit-def: $vgpr22_vgpr23
	s_mov_b32 s17, 0
.LBB3_158:                              ;   in Loop: Header=BB3_117 Depth=1
	global_load_b64 v[22:23], v11, s[12:13]
	s_add_co_i32 s17, s16, -8
.LBB3_159:                              ;   in Loop: Header=BB3_117 Depth=1
	s_delay_alu instid0(SALU_CYCLE_1)
	s_cmp_gt_u32 s17, 7
	s_cbranch_scc1 .LBB3_164
; %bb.160:                              ;   in Loop: Header=BB3_117 Depth=1
	v_mov_b64_e32 v[24:25], 0
	s_cmp_eq_u32 s17, 0
	s_cbranch_scc1 .LBB3_163
; %bb.161:                              ;   in Loop: Header=BB3_117 Depth=1
	s_wait_xcnt 0x0
	s_mov_b64 s[12:13], 0
	s_mov_b64 s[14:15], s[0:1]
.LBB3_162:                              ;   Parent Loop BB3_117 Depth=1
                                        ; =>  This Inner Loop Header: Depth=2
	global_load_u8 v3, v11, s[14:15]
	s_add_co_i32 s17, s17, -1
	s_wait_xcnt 0x0
	s_add_nc_u64 s[14:15], s[14:15], 1
	s_cmp_lg_u32 s17, 0
	s_wait_loadcnt 0x0
	v_and_b32_e32 v10, 0xffff, v3
	s_delay_alu instid0(VALU_DEP_1) | instskip(SKIP_1) | instid1(VALU_DEP_1)
	v_lshlrev_b64_e32 v[26:27], s12, v[10:11]
	s_add_nc_u64 s[12:13], s[12:13], 8
	v_or_b32_e32 v24, v26, v24
	s_delay_alu instid0(VALU_DEP_2)
	v_or_b32_e32 v25, v27, v25
	s_cbranch_scc1 .LBB3_162
.LBB3_163:                              ;   in Loop: Header=BB3_117 Depth=1
	s_wait_xcnt 0x0
	s_cbranch_execz .LBB3_165
	s_branch .LBB3_166
.LBB3_164:                              ;   in Loop: Header=BB3_117 Depth=1
	s_wait_xcnt 0x0
.LBB3_165:                              ;   in Loop: Header=BB3_117 Depth=1
	global_load_b64 v[24:25], v11, s[0:1]
.LBB3_166:                              ;   in Loop: Header=BB3_117 Depth=1
	s_wait_xcnt 0x0
	v_readfirstlane_b32 s0, v48
	v_mov_b64_e32 v[32:33], 0
	s_delay_alu instid0(VALU_DEP_2)
	v_cmp_eq_u32_e64 s0, s0, v48
	s_and_saveexec_b32 s1, s0
	s_cbranch_execz .LBB3_172
; %bb.167:                              ;   in Loop: Header=BB3_117 Depth=1
	global_load_b64 v[28:29], v11, s[2:3] offset:24 scope:SCOPE_SYS
	s_wait_loadcnt 0x0
	global_inv scope:SCOPE_SYS
	s_clause 0x1
	global_load_b64 v[26:27], v11, s[2:3] offset:40
	global_load_b64 v[32:33], v11, s[2:3]
	s_mov_b32 s12, exec_lo
	s_wait_loadcnt 0x1
	v_and_b32_e32 v26, v26, v28
	v_and_b32_e32 v27, v27, v29
	s_delay_alu instid0(VALU_DEP_1) | instskip(SKIP_1) | instid1(VALU_DEP_1)
	v_mul_u64_e32 v[26:27], 24, v[26:27]
	s_wait_loadcnt 0x0
	v_add_nc_u64_e32 v[26:27], v[32:33], v[26:27]
	global_load_b64 v[26:27], v[26:27], off scope:SCOPE_SYS
	s_wait_xcnt 0x0
	s_wait_loadcnt 0x0
	global_atomic_cmpswap_b64 v[32:33], v11, v[26:29], s[2:3] offset:24 th:TH_ATOMIC_RETURN scope:SCOPE_SYS
	s_wait_loadcnt 0x0
	global_inv scope:SCOPE_SYS
	s_wait_xcnt 0x0
	v_cmpx_ne_u64_e64 v[32:33], v[28:29]
	s_cbranch_execz .LBB3_171
; %bb.168:                              ;   in Loop: Header=BB3_117 Depth=1
	s_mov_b32 s13, 0
.LBB3_169:                              ;   Parent Loop BB3_117 Depth=1
                                        ; =>  This Inner Loop Header: Depth=2
	s_sleep 1
	s_clause 0x1
	global_load_b64 v[26:27], v11, s[2:3] offset:40
	global_load_b64 v[34:35], v11, s[2:3]
	v_mov_b64_e32 v[28:29], v[32:33]
	s_wait_loadcnt 0x1
	s_delay_alu instid0(VALU_DEP_1) | instskip(SKIP_1) | instid1(VALU_DEP_1)
	v_and_b32_e32 v3, v26, v28
	s_wait_loadcnt 0x0
	v_mad_nc_u64_u32 v[32:33], v3, 24, v[34:35]
	s_delay_alu instid0(VALU_DEP_3) | instskip(NEXT) | instid1(VALU_DEP_1)
	v_and_b32_e32 v3, v27, v29
	v_mad_u32 v33, v3, 24, v33
	global_load_b64 v[26:27], v[32:33], off scope:SCOPE_SYS
	s_wait_xcnt 0x0
	s_wait_loadcnt 0x0
	global_atomic_cmpswap_b64 v[32:33], v11, v[26:29], s[2:3] offset:24 th:TH_ATOMIC_RETURN scope:SCOPE_SYS
	s_wait_loadcnt 0x0
	global_inv scope:SCOPE_SYS
	v_cmp_eq_u64_e32 vcc_lo, v[32:33], v[28:29]
	s_or_b32 s13, vcc_lo, s13
	s_wait_xcnt 0x0
	s_and_not1_b32 exec_lo, exec_lo, s13
	s_cbranch_execnz .LBB3_169
; %bb.170:                              ;   in Loop: Header=BB3_117 Depth=1
	s_or_b32 exec_lo, exec_lo, s13
.LBB3_171:                              ;   in Loop: Header=BB3_117 Depth=1
	s_delay_alu instid0(SALU_CYCLE_1)
	s_or_b32 exec_lo, exec_lo, s12
.LBB3_172:                              ;   in Loop: Header=BB3_117 Depth=1
	s_delay_alu instid0(SALU_CYCLE_1)
	s_or_b32 exec_lo, exec_lo, s1
	s_clause 0x1
	global_load_b64 v[34:35], v11, s[2:3] offset:40
	global_load_b128 v[26:29], v11, s[2:3]
	v_readfirstlane_b32 s12, v32
	v_readfirstlane_b32 s13, v33
	s_mov_b32 s1, exec_lo
	s_wait_loadcnt 0x1
	v_and_b32_e32 v34, s12, v34
	v_and_b32_e32 v35, s13, v35
	s_delay_alu instid0(VALU_DEP_1) | instskip(SKIP_1) | instid1(VALU_DEP_1)
	v_mul_u64_e32 v[32:33], 24, v[34:35]
	s_wait_loadcnt 0x0
	v_add_nc_u64_e32 v[32:33], v[26:27], v[32:33]
	s_wait_xcnt 0x0
	s_and_saveexec_b32 s14, s0
	s_cbranch_execz .LBB3_174
; %bb.173:                              ;   in Loop: Header=BB3_117 Depth=1
	v_mov_b32_e32 v10, s1
	global_store_b128 v[32:33], v[10:13], off offset:8
.LBB3_174:                              ;   in Loop: Header=BB3_117 Depth=1
	s_wait_xcnt 0x0
	s_or_b32 exec_lo, exec_lo, s14
	v_cmp_lt_u64_e64 vcc_lo, s[6:7], 57
	v_lshlrev_b64_e32 v[34:35], 12, v[34:35]
	v_and_b32_e32 v6, 0xffffff1f, v6
	s_lshl_b32 s1, s10, 2
	s_delay_alu instid0(SALU_CYCLE_1) | instskip(SKIP_1) | instid1(VALU_DEP_3)
	s_add_co_i32 s1, s1, 28
	v_cndmask_b32_e32 v3, 0, v2, vcc_lo
	v_add_nc_u64_e32 v[28:29], v[28:29], v[34:35]
	s_delay_alu instid0(VALU_DEP_2) | instskip(NEXT) | instid1(VALU_DEP_2)
	v_or_b32_e32 v3, v6, v3
	v_readfirstlane_b32 s14, v28
	s_delay_alu instid0(VALU_DEP_3) | instskip(NEXT) | instid1(VALU_DEP_3)
	v_readfirstlane_b32 s15, v29
	v_and_or_b32 v6, 0x1e0, s1, v3
	s_clause 0x3
	global_store_b128 v30, v[6:9], s[14:15]
	global_store_b128 v30, v[14:17], s[14:15] offset:16
	global_store_b128 v30, v[18:21], s[14:15] offset:32
	;; [unrolled: 1-line block ×3, first 2 shown]
	s_wait_xcnt 0x0
	s_and_saveexec_b32 s1, s0
	s_cbranch_execz .LBB3_182
; %bb.175:                              ;   in Loop: Header=BB3_117 Depth=1
	s_clause 0x1
	global_load_b64 v[18:19], v11, s[2:3] offset:32 scope:SCOPE_SYS
	global_load_b64 v[6:7], v11, s[2:3] offset:40
	s_mov_b32 s14, exec_lo
	v_dual_mov_b32 v16, s12 :: v_dual_mov_b32 v17, s13
	s_wait_loadcnt 0x0
	v_and_b32_e32 v7, s13, v7
	v_and_b32_e32 v6, s12, v6
	s_delay_alu instid0(VALU_DEP_1) | instskip(NEXT) | instid1(VALU_DEP_1)
	v_mul_u64_e32 v[6:7], 24, v[6:7]
	v_add_nc_u64_e32 v[14:15], v[26:27], v[6:7]
	global_store_b64 v[14:15], v[18:19], off
	global_wb scope:SCOPE_SYS
	s_wait_storecnt 0x0
	s_wait_xcnt 0x0
	global_atomic_cmpswap_b64 v[8:9], v11, v[16:19], s[2:3] offset:32 th:TH_ATOMIC_RETURN scope:SCOPE_SYS
	s_wait_loadcnt 0x0
	v_cmpx_ne_u64_e64 v[8:9], v[18:19]
	s_cbranch_execz .LBB3_178
; %bb.176:                              ;   in Loop: Header=BB3_117 Depth=1
	s_mov_b32 s15, 0
.LBB3_177:                              ;   Parent Loop BB3_117 Depth=1
                                        ; =>  This Inner Loop Header: Depth=2
	v_dual_mov_b32 v6, s12 :: v_dual_mov_b32 v7, s13
	s_sleep 1
	global_store_b64 v[14:15], v[8:9], off
	global_wb scope:SCOPE_SYS
	s_wait_storecnt 0x0
	s_wait_xcnt 0x0
	global_atomic_cmpswap_b64 v[6:7], v11, v[6:9], s[2:3] offset:32 th:TH_ATOMIC_RETURN scope:SCOPE_SYS
	s_wait_loadcnt 0x0
	v_cmp_eq_u64_e32 vcc_lo, v[6:7], v[8:9]
	v_mov_b64_e32 v[8:9], v[6:7]
	s_or_b32 s15, vcc_lo, s15
	s_delay_alu instid0(SALU_CYCLE_1)
	s_and_not1_b32 exec_lo, exec_lo, s15
	s_cbranch_execnz .LBB3_177
.LBB3_178:                              ;   in Loop: Header=BB3_117 Depth=1
	s_or_b32 exec_lo, exec_lo, s14
	global_load_b64 v[6:7], v11, s[2:3] offset:16
	s_mov_b32 s15, exec_lo
	s_mov_b32 s14, exec_lo
	v_mbcnt_lo_u32_b32 v3, s15, 0
	s_wait_xcnt 0x0
	s_delay_alu instid0(VALU_DEP_1)
	v_cmpx_eq_u32_e32 0, v3
	s_cbranch_execz .LBB3_180
; %bb.179:                              ;   in Loop: Header=BB3_117 Depth=1
	s_bcnt1_i32_b32 s15, s15
	s_delay_alu instid0(SALU_CYCLE_1)
	v_mov_b32_e32 v10, s15
	global_wb scope:SCOPE_SYS
	s_wait_loadcnt 0x0
	s_wait_storecnt 0x0
	global_atomic_add_u64 v[6:7], v[10:11], off offset:8 scope:SCOPE_SYS
.LBB3_180:                              ;   in Loop: Header=BB3_117 Depth=1
	s_wait_xcnt 0x0
	s_or_b32 exec_lo, exec_lo, s14
	s_wait_loadcnt 0x0
	global_load_b64 v[8:9], v[6:7], off offset:16
	s_wait_loadcnt 0x0
	v_cmp_eq_u64_e32 vcc_lo, 0, v[8:9]
	s_cbranch_vccnz .LBB3_182
; %bb.181:                              ;   in Loop: Header=BB3_117 Depth=1
	global_load_b32 v10, v[6:7], off offset:24
	s_wait_loadcnt 0x0
	v_readfirstlane_b32 s14, v10
	global_wb scope:SCOPE_SYS
	s_wait_storecnt 0x0
	s_wait_xcnt 0x0
	global_store_b64 v[8:9], v[10:11], off scope:SCOPE_SYS
	s_and_b32 m0, s14, 0xffffff
	s_sendmsg sendmsg(MSG_INTERRUPT)
.LBB3_182:                              ;   in Loop: Header=BB3_117 Depth=1
	s_wait_xcnt 0x0
	s_or_b32 exec_lo, exec_lo, s1
	v_mov_b32_e32 v31, v11
	s_delay_alu instid0(VALU_DEP_1)
	v_add_nc_u64_e32 v[6:7], v[28:29], v[30:31]
	s_branch .LBB3_186
.LBB3_183:                              ;   in Loop: Header=BB3_186 Depth=2
	s_wait_xcnt 0x0
	s_or_b32 exec_lo, exec_lo, s1
	s_delay_alu instid0(VALU_DEP_1)
	v_readfirstlane_b32 s1, v3
	s_cmp_eq_u32 s1, 0
	s_cbranch_scc1 .LBB3_185
; %bb.184:                              ;   in Loop: Header=BB3_186 Depth=2
	s_sleep 1
	s_cbranch_execnz .LBB3_186
	s_branch .LBB3_188
.LBB3_185:                              ;   in Loop: Header=BB3_117 Depth=1
	s_branch .LBB3_188
.LBB3_186:                              ;   Parent Loop BB3_117 Depth=1
                                        ; =>  This Inner Loop Header: Depth=2
	v_mov_b32_e32 v3, 1
	s_and_saveexec_b32 s1, s0
	s_cbranch_execz .LBB3_183
; %bb.187:                              ;   in Loop: Header=BB3_186 Depth=2
	global_load_b32 v3, v[32:33], off offset:20 scope:SCOPE_SYS
	s_wait_loadcnt 0x0
	global_inv scope:SCOPE_SYS
	v_and_b32_e32 v3, 1, v3
	s_branch .LBB3_183
.LBB3_188:                              ;   in Loop: Header=BB3_117 Depth=1
	global_load_b64 v[6:7], v[6:7], off
	s_wait_xcnt 0x0
	s_and_saveexec_b32 s14, s0
	s_cbranch_execz .LBB3_116
; %bb.189:                              ;   in Loop: Header=BB3_117 Depth=1
	s_clause 0x2
	global_load_b64 v[8:9], v11, s[2:3] offset:40
	global_load_b64 v[18:19], v11, s[2:3] offset:24 scope:SCOPE_SYS
	global_load_b64 v[14:15], v11, s[2:3]
	s_wait_loadcnt 0x2
	v_readfirstlane_b32 s16, v8
	v_readfirstlane_b32 s17, v9
	s_add_nc_u64 s[0:1], s[16:17], 1
	s_delay_alu instid0(SALU_CYCLE_1) | instskip(NEXT) | instid1(SALU_CYCLE_1)
	s_add_nc_u64 s[12:13], s[0:1], s[12:13]
	s_cmp_eq_u64 s[12:13], 0
	s_cselect_b32 s1, s1, s13
	s_cselect_b32 s0, s0, s12
	s_delay_alu instid0(SALU_CYCLE_1) | instskip(SKIP_1) | instid1(SALU_CYCLE_1)
	v_dual_mov_b32 v17, s1 :: v_dual_mov_b32 v16, s0
	s_and_b64 s[12:13], s[0:1], s[16:17]
	s_mul_u64 s[12:13], s[12:13], 24
	s_wait_loadcnt 0x0
	v_add_nc_u64_e32 v[8:9], s[12:13], v[14:15]
	global_store_b64 v[8:9], v[18:19], off
	global_wb scope:SCOPE_SYS
	s_wait_storecnt 0x0
	s_wait_xcnt 0x0
	global_atomic_cmpswap_b64 v[16:17], v11, v[16:19], s[2:3] offset:24 th:TH_ATOMIC_RETURN scope:SCOPE_SYS
	s_wait_loadcnt 0x0
	v_cmp_ne_u64_e32 vcc_lo, v[16:17], v[18:19]
	s_and_b32 exec_lo, exec_lo, vcc_lo
	s_cbranch_execz .LBB3_116
; %bb.190:                              ;   in Loop: Header=BB3_117 Depth=1
	s_mov_b32 s12, 0
.LBB3_191:                              ;   Parent Loop BB3_117 Depth=1
                                        ; =>  This Inner Loop Header: Depth=2
	v_dual_mov_b32 v14, s0 :: v_dual_mov_b32 v15, s1
	s_sleep 1
	global_store_b64 v[8:9], v[16:17], off
	global_wb scope:SCOPE_SYS
	s_wait_storecnt 0x0
	s_wait_xcnt 0x0
	global_atomic_cmpswap_b64 v[14:15], v11, v[14:17], s[2:3] offset:24 th:TH_ATOMIC_RETURN scope:SCOPE_SYS
	s_wait_loadcnt 0x0
	v_cmp_eq_u64_e32 vcc_lo, v[14:15], v[16:17]
	v_mov_b64_e32 v[16:17], v[14:15]
	s_or_b32 s12, vcc_lo, s12
	s_delay_alu instid0(SALU_CYCLE_1)
	s_and_not1_b32 exec_lo, exec_lo, s12
	s_cbranch_execnz .LBB3_191
	s_branch .LBB3_116
.LBB3_192:
	s_or_b32 exec_lo, exec_lo, s6
	s_branch .LBB3_114
.LBB3_193:
	v_readfirstlane_b32 s0, v48
	v_mov_b64_e32 v[8:9], 0
	s_delay_alu instid0(VALU_DEP_2)
	v_cmp_eq_u32_e64 s0, s0, v48
	s_and_saveexec_b32 s1, s0
	s_cbranch_execz .LBB3_199
; %bb.194:
	s_wait_loadcnt 0x0
	v_mov_b32_e32 v0, 0
	s_mov_b32 s4, exec_lo
	global_load_b64 v[10:11], v0, s[2:3] offset:24 scope:SCOPE_SYS
	s_wait_loadcnt 0x0
	global_inv scope:SCOPE_SYS
	s_clause 0x1
	global_load_b64 v[2:3], v0, s[2:3] offset:40
	global_load_b64 v[8:9], v0, s[2:3]
	s_wait_loadcnt 0x1
	v_and_b32_e32 v2, v2, v10
	v_and_b32_e32 v3, v3, v11
	s_delay_alu instid0(VALU_DEP_1) | instskip(SKIP_1) | instid1(VALU_DEP_1)
	v_mul_u64_e32 v[2:3], 24, v[2:3]
	s_wait_loadcnt 0x0
	v_add_nc_u64_e32 v[2:3], v[8:9], v[2:3]
	global_load_b64 v[8:9], v[2:3], off scope:SCOPE_SYS
	s_wait_xcnt 0x0
	s_wait_loadcnt 0x0
	global_atomic_cmpswap_b64 v[8:9], v0, v[8:11], s[2:3] offset:24 th:TH_ATOMIC_RETURN scope:SCOPE_SYS
	s_wait_loadcnt 0x0
	global_inv scope:SCOPE_SYS
	s_wait_xcnt 0x0
	v_cmpx_ne_u64_e64 v[8:9], v[10:11]
	s_cbranch_execz .LBB3_198
; %bb.195:
	s_mov_b32 s5, 0
.LBB3_196:                              ; =>This Inner Loop Header: Depth=1
	s_sleep 1
	s_clause 0x1
	global_load_b64 v[2:3], v0, s[2:3] offset:40
	global_load_b64 v[12:13], v0, s[2:3]
	v_mov_b64_e32 v[10:11], v[8:9]
	s_wait_loadcnt 0x1
	s_delay_alu instid0(VALU_DEP_1) | instskip(SKIP_1) | instid1(VALU_DEP_1)
	v_and_b32_e32 v1, v2, v10
	s_wait_loadcnt 0x0
	v_mad_nc_u64_u32 v[8:9], v1, 24, v[12:13]
	s_delay_alu instid0(VALU_DEP_3) | instskip(NEXT) | instid1(VALU_DEP_1)
	v_and_b32_e32 v1, v3, v11
	v_mad_u32 v9, v1, 24, v9
	global_load_b64 v[8:9], v[8:9], off scope:SCOPE_SYS
	s_wait_xcnt 0x0
	s_wait_loadcnt 0x0
	global_atomic_cmpswap_b64 v[8:9], v0, v[8:11], s[2:3] offset:24 th:TH_ATOMIC_RETURN scope:SCOPE_SYS
	s_wait_loadcnt 0x0
	global_inv scope:SCOPE_SYS
	v_cmp_eq_u64_e32 vcc_lo, v[8:9], v[10:11]
	s_or_b32 s5, vcc_lo, s5
	s_wait_xcnt 0x0
	s_and_not1_b32 exec_lo, exec_lo, s5
	s_cbranch_execnz .LBB3_196
; %bb.197:
	s_or_b32 exec_lo, exec_lo, s5
.LBB3_198:
	s_delay_alu instid0(SALU_CYCLE_1)
	s_or_b32 exec_lo, exec_lo, s4
.LBB3_199:
	s_delay_alu instid0(SALU_CYCLE_1)
	s_or_b32 exec_lo, exec_lo, s1
	v_readfirstlane_b32 s4, v8
	v_mov_b32_e32 v31, 0
	v_readfirstlane_b32 s5, v9
	s_mov_b32 s1, exec_lo
	global_load_b64 v[10:11], v31, s[2:3] offset:40
	s_wait_loadcnt 0x1
	global_load_b128 v[0:3], v31, s[2:3]
	s_wait_loadcnt 0x1
	v_and_b32_e32 v8, s4, v10
	v_and_b32_e32 v9, s5, v11
	s_delay_alu instid0(VALU_DEP_1) | instskip(SKIP_1) | instid1(VALU_DEP_1)
	v_mul_u64_e32 v[10:11], 24, v[8:9]
	s_wait_loadcnt 0x0
	v_add_nc_u64_e32 v[10:11], v[0:1], v[10:11]
	s_wait_xcnt 0x0
	s_and_saveexec_b32 s6, s0
	s_cbranch_execz .LBB3_201
; %bb.200:
	v_mov_b64_e32 v[14:15], 0x100000002
	v_dual_mov_b32 v12, s1 :: v_dual_mov_b32 v13, v31
	global_store_b128 v[10:11], v[12:15], off offset:8
.LBB3_201:
	s_wait_xcnt 0x0
	s_or_b32 exec_lo, exec_lo, s6
	v_lshlrev_b64_e32 v[8:9], 12, v[8:9]
	s_mov_b32 s12, 0
	v_and_or_b32 v6, 0xffffff1f, v6, 32
	s_mov_b32 s14, s12
	s_mov_b32 s15, s12
	;; [unrolled: 1-line block ×3, first 2 shown]
	v_mov_b64_e32 v[16:17], s[14:15]
	v_add_nc_u64_e32 v[12:13], v[2:3], v[8:9]
	v_mov_b64_e32 v[14:15], s[12:13]
	v_dual_mov_b32 v8, v31 :: v_dual_mov_b32 v9, v31
	s_delay_alu instid0(VALU_DEP_3) | instskip(NEXT) | instid1(VALU_DEP_4)
	v_readfirstlane_b32 s6, v12
	v_readfirstlane_b32 s7, v13
	s_clause 0x3
	global_store_b128 v30, v[6:9], s[6:7]
	global_store_b128 v30, v[14:17], s[6:7] offset:16
	global_store_b128 v30, v[14:17], s[6:7] offset:32
	;; [unrolled: 1-line block ×3, first 2 shown]
	s_wait_xcnt 0x0
	s_and_saveexec_b32 s1, s0
	s_cbranch_execz .LBB3_209
; %bb.202:
	v_dual_mov_b32 v8, 0 :: v_dual_mov_b32 v15, s5
	s_mov_b32 s6, exec_lo
	s_clause 0x1
	global_load_b64 v[16:17], v8, s[2:3] offset:32 scope:SCOPE_SYS
	global_load_b64 v[2:3], v8, s[2:3] offset:40
	s_wait_loadcnt 0x0
	v_dual_mov_b32 v14, s4 :: v_dual_bitop2_b32 v3, s5, v3 bitop3:0x40
	v_and_b32_e32 v2, s4, v2
	s_delay_alu instid0(VALU_DEP_1) | instskip(NEXT) | instid1(VALU_DEP_1)
	v_mul_u64_e32 v[2:3], 24, v[2:3]
	v_add_nc_u64_e32 v[6:7], v[0:1], v[2:3]
	global_store_b64 v[6:7], v[16:17], off
	global_wb scope:SCOPE_SYS
	s_wait_storecnt 0x0
	s_wait_xcnt 0x0
	global_atomic_cmpswap_b64 v[2:3], v8, v[14:17], s[2:3] offset:32 th:TH_ATOMIC_RETURN scope:SCOPE_SYS
	s_wait_loadcnt 0x0
	v_cmpx_ne_u64_e64 v[2:3], v[16:17]
	s_cbranch_execz .LBB3_205
; %bb.203:
	s_mov_b32 s7, 0
.LBB3_204:                              ; =>This Inner Loop Header: Depth=1
	v_dual_mov_b32 v0, s4 :: v_dual_mov_b32 v1, s5
	s_sleep 1
	global_store_b64 v[6:7], v[2:3], off
	global_wb scope:SCOPE_SYS
	s_wait_storecnt 0x0
	s_wait_xcnt 0x0
	global_atomic_cmpswap_b64 v[0:1], v8, v[0:3], s[2:3] offset:32 th:TH_ATOMIC_RETURN scope:SCOPE_SYS
	s_wait_loadcnt 0x0
	v_cmp_eq_u64_e32 vcc_lo, v[0:1], v[2:3]
	v_mov_b64_e32 v[2:3], v[0:1]
	s_or_b32 s7, vcc_lo, s7
	s_delay_alu instid0(SALU_CYCLE_1)
	s_and_not1_b32 exec_lo, exec_lo, s7
	s_cbranch_execnz .LBB3_204
.LBB3_205:
	s_or_b32 exec_lo, exec_lo, s6
	v_mov_b32_e32 v3, 0
	s_mov_b32 s7, exec_lo
	s_mov_b32 s6, exec_lo
	v_mbcnt_lo_u32_b32 v2, s7, 0
	global_load_b64 v[0:1], v3, s[2:3] offset:16
	s_wait_xcnt 0x0
	v_cmpx_eq_u32_e32 0, v2
	s_cbranch_execz .LBB3_207
; %bb.206:
	s_bcnt1_i32_b32 s7, s7
	s_delay_alu instid0(SALU_CYCLE_1)
	v_mov_b32_e32 v2, s7
	global_wb scope:SCOPE_SYS
	s_wait_loadcnt 0x0
	s_wait_storecnt 0x0
	global_atomic_add_u64 v[0:1], v[2:3], off offset:8 scope:SCOPE_SYS
.LBB3_207:
	s_wait_xcnt 0x0
	s_or_b32 exec_lo, exec_lo, s6
	s_wait_loadcnt 0x0
	global_load_b64 v[2:3], v[0:1], off offset:16
	s_wait_loadcnt 0x0
	v_cmp_eq_u64_e32 vcc_lo, 0, v[2:3]
	s_cbranch_vccnz .LBB3_209
; %bb.208:
	global_load_b32 v0, v[0:1], off offset:24
	s_wait_xcnt 0x0
	v_mov_b32_e32 v1, 0
	s_wait_loadcnt 0x0
	v_readfirstlane_b32 s6, v0
	global_wb scope:SCOPE_SYS
	s_wait_storecnt 0x0
	global_store_b64 v[2:3], v[0:1], off scope:SCOPE_SYS
	s_and_b32 m0, s6, 0xffffff
	s_sendmsg sendmsg(MSG_INTERRUPT)
.LBB3_209:
	s_wait_xcnt 0x0
	s_or_b32 exec_lo, exec_lo, s1
	v_add_nc_u64_e32 v[0:1], v[12:13], v[30:31]
	s_branch .LBB3_213
.LBB3_210:                              ;   in Loop: Header=BB3_213 Depth=1
	s_wait_xcnt 0x0
	s_or_b32 exec_lo, exec_lo, s1
	s_delay_alu instid0(VALU_DEP_1)
	v_readfirstlane_b32 s1, v2
	s_cmp_eq_u32 s1, 0
	s_cbranch_scc1 .LBB3_212
; %bb.211:                              ;   in Loop: Header=BB3_213 Depth=1
	s_sleep 1
	s_cbranch_execnz .LBB3_213
	s_branch .LBB3_216
.LBB3_212:
	s_branch .LBB3_216
.LBB3_213:                              ; =>This Inner Loop Header: Depth=1
	v_mov_b32_e32 v2, 1
	s_and_saveexec_b32 s1, s0
	s_cbranch_execz .LBB3_210
; %bb.214:                              ;   in Loop: Header=BB3_213 Depth=1
	global_load_b32 v2, v[10:11], off offset:20 scope:SCOPE_SYS
	s_wait_loadcnt 0x0
	global_inv scope:SCOPE_SYS
	v_and_b32_e32 v2, 1, v2
	s_branch .LBB3_210
.LBB3_215:
	s_branch .LBB3_249
.LBB3_216:
	global_load_b64 v[0:1], v[0:1], off
	s_wait_xcnt 0x0
	s_and_saveexec_b32 s6, s0
	s_cbranch_execz .LBB3_220
; %bb.217:
	v_mov_b32_e32 v10, 0
	s_clause 0x2
	global_load_b64 v[2:3], v10, s[2:3] offset:40
	global_load_b64 v[14:15], v10, s[2:3] offset:24 scope:SCOPE_SYS
	global_load_b64 v[6:7], v10, s[2:3]
	s_wait_loadcnt 0x2
	v_readfirstlane_b32 s10, v2
	v_readfirstlane_b32 s11, v3
	s_add_nc_u64 s[0:1], s[10:11], 1
	s_delay_alu instid0(SALU_CYCLE_1) | instskip(NEXT) | instid1(SALU_CYCLE_1)
	s_add_nc_u64 s[4:5], s[0:1], s[4:5]
	s_cmp_eq_u64 s[4:5], 0
	s_cselect_b32 s1, s1, s5
	s_cselect_b32 s0, s0, s4
	v_mov_b32_e32 v13, s1
	s_and_b64 s[4:5], s[0:1], s[10:11]
	v_mov_b32_e32 v12, s0
	s_mul_u64 s[4:5], s[4:5], 24
	s_wait_loadcnt 0x0
	v_add_nc_u64_e32 v[2:3], s[4:5], v[6:7]
	global_store_b64 v[2:3], v[14:15], off
	global_wb scope:SCOPE_SYS
	s_wait_storecnt 0x0
	s_wait_xcnt 0x0
	global_atomic_cmpswap_b64 v[8:9], v10, v[12:15], s[2:3] offset:24 th:TH_ATOMIC_RETURN scope:SCOPE_SYS
	s_wait_loadcnt 0x0
	v_cmp_ne_u64_e32 vcc_lo, v[8:9], v[14:15]
	s_and_b32 exec_lo, exec_lo, vcc_lo
	s_cbranch_execz .LBB3_220
; %bb.218:
	s_mov_b32 s4, 0
.LBB3_219:                              ; =>This Inner Loop Header: Depth=1
	v_dual_mov_b32 v6, s0 :: v_dual_mov_b32 v7, s1
	s_sleep 1
	global_store_b64 v[2:3], v[8:9], off
	global_wb scope:SCOPE_SYS
	s_wait_storecnt 0x0
	s_wait_xcnt 0x0
	global_atomic_cmpswap_b64 v[6:7], v10, v[6:9], s[2:3] offset:24 th:TH_ATOMIC_RETURN scope:SCOPE_SYS
	s_wait_loadcnt 0x0
	v_cmp_eq_u64_e32 vcc_lo, v[6:7], v[8:9]
	v_mov_b64_e32 v[8:9], v[6:7]
	s_or_b32 s4, vcc_lo, s4
	s_delay_alu instid0(SALU_CYCLE_1)
	s_and_not1_b32 exec_lo, exec_lo, s4
	s_cbranch_execnz .LBB3_219
.LBB3_220:
	s_or_b32 exec_lo, exec_lo, s6
	s_get_pc_i64 s[4:5]
	s_add_nc_u64 s[4:5], s[4:5], .str.5@rel64+4
	s_delay_alu instid0(SALU_CYCLE_1)
	s_cmp_lg_u64 s[4:5], 0
	s_cbranch_scc1 .LBB3_115
.LBB3_221:
                                        ; implicit-def: $vgpr6_vgpr7
	s_cbranch_execz .LBB3_249
; %bb.222:
	v_readfirstlane_b32 s0, v48
	v_mov_b64_e32 v[2:3], 0
	s_delay_alu instid0(VALU_DEP_2)
	v_cmp_eq_u32_e64 s0, s0, v48
	s_and_saveexec_b32 s1, s0
	s_cbranch_execz .LBB3_228
; %bb.223:
	s_wait_loadcnt 0x0
	v_mov_b32_e32 v6, 0
	s_mov_b32 s4, exec_lo
	global_load_b64 v[10:11], v6, s[2:3] offset:24 scope:SCOPE_SYS
	s_wait_loadcnt 0x0
	global_inv scope:SCOPE_SYS
	s_clause 0x1
	global_load_b64 v[2:3], v6, s[2:3] offset:40
	global_load_b64 v[8:9], v6, s[2:3]
	s_wait_loadcnt 0x1
	v_and_b32_e32 v2, v2, v10
	v_and_b32_e32 v3, v3, v11
	s_delay_alu instid0(VALU_DEP_1) | instskip(SKIP_1) | instid1(VALU_DEP_1)
	v_mul_u64_e32 v[2:3], 24, v[2:3]
	s_wait_loadcnt 0x0
	v_add_nc_u64_e32 v[2:3], v[8:9], v[2:3]
	global_load_b64 v[8:9], v[2:3], off scope:SCOPE_SYS
	s_wait_xcnt 0x0
	s_wait_loadcnt 0x0
	global_atomic_cmpswap_b64 v[2:3], v6, v[8:11], s[2:3] offset:24 th:TH_ATOMIC_RETURN scope:SCOPE_SYS
	s_wait_loadcnt 0x0
	global_inv scope:SCOPE_SYS
	s_wait_xcnt 0x0
	v_cmpx_ne_u64_e64 v[2:3], v[10:11]
	s_cbranch_execz .LBB3_227
; %bb.224:
	s_mov_b32 s5, 0
.LBB3_225:                              ; =>This Inner Loop Header: Depth=1
	s_sleep 1
	s_clause 0x1
	global_load_b64 v[8:9], v6, s[2:3] offset:40
	global_load_b64 v[12:13], v6, s[2:3]
	v_mov_b64_e32 v[10:11], v[2:3]
	s_wait_loadcnt 0x1
	s_delay_alu instid0(VALU_DEP_1) | instskip(NEXT) | instid1(VALU_DEP_2)
	v_and_b32_e32 v2, v8, v10
	v_and_b32_e32 v7, v9, v11
	s_wait_loadcnt 0x0
	s_delay_alu instid0(VALU_DEP_2) | instskip(NEXT) | instid1(VALU_DEP_1)
	v_mad_nc_u64_u32 v[2:3], v2, 24, v[12:13]
	v_mad_u32 v3, v7, 24, v3
	global_load_b64 v[8:9], v[2:3], off scope:SCOPE_SYS
	s_wait_xcnt 0x0
	s_wait_loadcnt 0x0
	global_atomic_cmpswap_b64 v[2:3], v6, v[8:11], s[2:3] offset:24 th:TH_ATOMIC_RETURN scope:SCOPE_SYS
	s_wait_loadcnt 0x0
	global_inv scope:SCOPE_SYS
	v_cmp_eq_u64_e32 vcc_lo, v[2:3], v[10:11]
	s_or_b32 s5, vcc_lo, s5
	s_wait_xcnt 0x0
	s_and_not1_b32 exec_lo, exec_lo, s5
	s_cbranch_execnz .LBB3_225
; %bb.226:
	s_or_b32 exec_lo, exec_lo, s5
.LBB3_227:
	s_delay_alu instid0(SALU_CYCLE_1)
	s_or_b32 exec_lo, exec_lo, s4
.LBB3_228:
	s_delay_alu instid0(SALU_CYCLE_1)
	s_or_b32 exec_lo, exec_lo, s1
	v_readfirstlane_b32 s4, v2
	v_mov_b32_e32 v31, 0
	v_readfirstlane_b32 s5, v3
	s_mov_b32 s1, exec_lo
	global_load_b64 v[10:11], v31, s[2:3] offset:40
	s_wait_loadcnt 0x1
	global_load_b128 v[6:9], v31, s[2:3]
	s_wait_loadcnt 0x1
	v_and_b32_e32 v2, s4, v10
	v_and_b32_e32 v3, s5, v11
	s_delay_alu instid0(VALU_DEP_1) | instskip(SKIP_1) | instid1(VALU_DEP_1)
	v_mul_u64_e32 v[10:11], 24, v[2:3]
	s_wait_loadcnt 0x0
	v_add_nc_u64_e32 v[10:11], v[6:7], v[10:11]
	s_wait_xcnt 0x0
	s_and_saveexec_b32 s6, s0
	s_cbranch_execz .LBB3_230
; %bb.229:
	v_mov_b64_e32 v[14:15], 0x100000002
	v_dual_mov_b32 v12, s1 :: v_dual_mov_b32 v13, v31
	global_store_b128 v[10:11], v[12:15], off offset:8
.LBB3_230:
	s_wait_xcnt 0x0
	s_or_b32 exec_lo, exec_lo, s6
	v_lshlrev_b64_e32 v[2:3], 12, v[2:3]
	s_mov_b32 s12, 0
	v_and_or_b32 v0, 0xffffff1f, v0, 32
	s_mov_b32 s13, s12
	s_mov_b32 s14, s12
	;; [unrolled: 1-line block ×3, first 2 shown]
	v_mov_b64_e32 v[12:13], s[12:13]
	v_add_nc_u64_e32 v[8:9], v[8:9], v[2:3]
	v_mov_b64_e32 v[14:15], s[14:15]
	v_dual_mov_b32 v2, v31 :: v_dual_mov_b32 v3, v31
	s_delay_alu instid0(VALU_DEP_3) | instskip(NEXT) | instid1(VALU_DEP_4)
	v_readfirstlane_b32 s6, v8
	v_readfirstlane_b32 s7, v9
	s_clause 0x3
	global_store_b128 v30, v[0:3], s[6:7]
	global_store_b128 v30, v[12:15], s[6:7] offset:16
	global_store_b128 v30, v[12:15], s[6:7] offset:32
	;; [unrolled: 1-line block ×3, first 2 shown]
	s_wait_xcnt 0x0
	s_and_saveexec_b32 s1, s0
	s_cbranch_execz .LBB3_238
; %bb.231:
	v_dual_mov_b32 v12, 0 :: v_dual_mov_b32 v15, s5
	s_mov_b32 s6, exec_lo
	s_clause 0x1
	global_load_b64 v[16:17], v12, s[2:3] offset:32 scope:SCOPE_SYS
	global_load_b64 v[0:1], v12, s[2:3] offset:40
	s_wait_loadcnt 0x0
	v_dual_mov_b32 v14, s4 :: v_dual_bitop2_b32 v1, s5, v1 bitop3:0x40
	v_and_b32_e32 v0, s4, v0
	s_delay_alu instid0(VALU_DEP_1) | instskip(NEXT) | instid1(VALU_DEP_1)
	v_mul_u64_e32 v[0:1], 24, v[0:1]
	v_add_nc_u64_e32 v[6:7], v[6:7], v[0:1]
	global_store_b64 v[6:7], v[16:17], off
	global_wb scope:SCOPE_SYS
	s_wait_storecnt 0x0
	s_wait_xcnt 0x0
	global_atomic_cmpswap_b64 v[2:3], v12, v[14:17], s[2:3] offset:32 th:TH_ATOMIC_RETURN scope:SCOPE_SYS
	s_wait_loadcnt 0x0
	v_cmpx_ne_u64_e64 v[2:3], v[16:17]
	s_cbranch_execz .LBB3_234
; %bb.232:
	s_mov_b32 s7, 0
.LBB3_233:                              ; =>This Inner Loop Header: Depth=1
	v_dual_mov_b32 v0, s4 :: v_dual_mov_b32 v1, s5
	s_sleep 1
	global_store_b64 v[6:7], v[2:3], off
	global_wb scope:SCOPE_SYS
	s_wait_storecnt 0x0
	s_wait_xcnt 0x0
	global_atomic_cmpswap_b64 v[0:1], v12, v[0:3], s[2:3] offset:32 th:TH_ATOMIC_RETURN scope:SCOPE_SYS
	s_wait_loadcnt 0x0
	v_cmp_eq_u64_e32 vcc_lo, v[0:1], v[2:3]
	v_mov_b64_e32 v[2:3], v[0:1]
	s_or_b32 s7, vcc_lo, s7
	s_delay_alu instid0(SALU_CYCLE_1)
	s_and_not1_b32 exec_lo, exec_lo, s7
	s_cbranch_execnz .LBB3_233
.LBB3_234:
	s_or_b32 exec_lo, exec_lo, s6
	v_mov_b32_e32 v3, 0
	s_mov_b32 s7, exec_lo
	s_mov_b32 s6, exec_lo
	v_mbcnt_lo_u32_b32 v2, s7, 0
	global_load_b64 v[0:1], v3, s[2:3] offset:16
	s_wait_xcnt 0x0
	v_cmpx_eq_u32_e32 0, v2
	s_cbranch_execz .LBB3_236
; %bb.235:
	s_bcnt1_i32_b32 s7, s7
	s_delay_alu instid0(SALU_CYCLE_1)
	v_mov_b32_e32 v2, s7
	global_wb scope:SCOPE_SYS
	s_wait_loadcnt 0x0
	s_wait_storecnt 0x0
	global_atomic_add_u64 v[0:1], v[2:3], off offset:8 scope:SCOPE_SYS
.LBB3_236:
	s_wait_xcnt 0x0
	s_or_b32 exec_lo, exec_lo, s6
	s_wait_loadcnt 0x0
	global_load_b64 v[2:3], v[0:1], off offset:16
	s_wait_loadcnt 0x0
	v_cmp_eq_u64_e32 vcc_lo, 0, v[2:3]
	s_cbranch_vccnz .LBB3_238
; %bb.237:
	global_load_b32 v0, v[0:1], off offset:24
	s_wait_xcnt 0x0
	v_mov_b32_e32 v1, 0
	s_wait_loadcnt 0x0
	v_readfirstlane_b32 s6, v0
	global_wb scope:SCOPE_SYS
	s_wait_storecnt 0x0
	global_store_b64 v[2:3], v[0:1], off scope:SCOPE_SYS
	s_and_b32 m0, s6, 0xffffff
	s_sendmsg sendmsg(MSG_INTERRUPT)
.LBB3_238:
	s_wait_xcnt 0x0
	s_or_b32 exec_lo, exec_lo, s1
	v_add_nc_u64_e32 v[0:1], v[8:9], v[30:31]
	s_branch .LBB3_242
.LBB3_239:                              ;   in Loop: Header=BB3_242 Depth=1
	s_wait_xcnt 0x0
	s_or_b32 exec_lo, exec_lo, s1
	s_delay_alu instid0(VALU_DEP_1)
	v_readfirstlane_b32 s1, v2
	s_cmp_eq_u32 s1, 0
	s_cbranch_scc1 .LBB3_241
; %bb.240:                              ;   in Loop: Header=BB3_242 Depth=1
	s_sleep 1
	s_cbranch_execnz .LBB3_242
	s_branch .LBB3_244
.LBB3_241:
	s_branch .LBB3_244
.LBB3_242:                              ; =>This Inner Loop Header: Depth=1
	v_mov_b32_e32 v2, 1
	s_and_saveexec_b32 s1, s0
	s_cbranch_execz .LBB3_239
; %bb.243:                              ;   in Loop: Header=BB3_242 Depth=1
	global_load_b32 v2, v[10:11], off offset:20 scope:SCOPE_SYS
	s_wait_loadcnt 0x0
	global_inv scope:SCOPE_SYS
	v_and_b32_e32 v2, 1, v2
	s_branch .LBB3_239
.LBB3_244:
	global_load_b64 v[6:7], v[0:1], off
	s_wait_xcnt 0x0
	s_and_saveexec_b32 s6, s0
	s_cbranch_execz .LBB3_248
; %bb.245:
	v_mov_b32_e32 v10, 0
	s_clause 0x2
	global_load_b64 v[0:1], v10, s[2:3] offset:40
	global_load_b64 v[14:15], v10, s[2:3] offset:24 scope:SCOPE_SYS
	global_load_b64 v[2:3], v10, s[2:3]
	s_wait_loadcnt 0x2
	v_readfirstlane_b32 s10, v0
	v_readfirstlane_b32 s11, v1
	s_add_nc_u64 s[0:1], s[10:11], 1
	s_delay_alu instid0(SALU_CYCLE_1) | instskip(NEXT) | instid1(SALU_CYCLE_1)
	s_add_nc_u64 s[4:5], s[0:1], s[4:5]
	s_cmp_eq_u64 s[4:5], 0
	s_cselect_b32 s1, s1, s5
	s_cselect_b32 s0, s0, s4
	v_mov_b32_e32 v13, s1
	s_and_b64 s[4:5], s[0:1], s[10:11]
	v_mov_b32_e32 v12, s0
	s_mul_u64 s[4:5], s[4:5], 24
	s_wait_loadcnt 0x0
	v_add_nc_u64_e32 v[8:9], s[4:5], v[2:3]
	global_store_b64 v[8:9], v[14:15], off
	global_wb scope:SCOPE_SYS
	s_wait_storecnt 0x0
	s_wait_xcnt 0x0
	global_atomic_cmpswap_b64 v[2:3], v10, v[12:15], s[2:3] offset:24 th:TH_ATOMIC_RETURN scope:SCOPE_SYS
	s_wait_loadcnt 0x0
	v_cmp_ne_u64_e32 vcc_lo, v[2:3], v[14:15]
	s_and_b32 exec_lo, exec_lo, vcc_lo
	s_cbranch_execz .LBB3_248
; %bb.246:
	s_mov_b32 s4, 0
.LBB3_247:                              ; =>This Inner Loop Header: Depth=1
	v_dual_mov_b32 v0, s0 :: v_dual_mov_b32 v1, s1
	s_sleep 1
	global_store_b64 v[8:9], v[2:3], off
	global_wb scope:SCOPE_SYS
	s_wait_storecnt 0x0
	s_wait_xcnt 0x0
	global_atomic_cmpswap_b64 v[0:1], v10, v[0:3], s[2:3] offset:24 th:TH_ATOMIC_RETURN scope:SCOPE_SYS
	s_wait_loadcnt 0x0
	v_cmp_eq_u64_e32 vcc_lo, v[0:1], v[2:3]
	v_mov_b64_e32 v[2:3], v[0:1]
	s_or_b32 s4, vcc_lo, s4
	s_delay_alu instid0(SALU_CYCLE_1)
	s_and_not1_b32 exec_lo, exec_lo, s4
	s_cbranch_execnz .LBB3_247
.LBB3_248:
	s_or_b32 exec_lo, exec_lo, s6
.LBB3_249:
	v_readfirstlane_b32 s0, v48
	v_mov_b64_e32 v[8:9], 0
	s_delay_alu instid0(VALU_DEP_2)
	v_cmp_eq_u32_e64 s0, s0, v48
	s_and_saveexec_b32 s1, s0
	s_cbranch_execz .LBB3_255
; %bb.250:
	s_wait_loadcnt 0x0
	v_mov_b32_e32 v0, 0
	s_mov_b32 s4, exec_lo
	global_load_b64 v[10:11], v0, s[2:3] offset:24 scope:SCOPE_SYS
	s_wait_loadcnt 0x0
	global_inv scope:SCOPE_SYS
	s_clause 0x1
	global_load_b64 v[2:3], v0, s[2:3] offset:40
	global_load_b64 v[8:9], v0, s[2:3]
	s_wait_loadcnt 0x1
	v_and_b32_e32 v2, v2, v10
	v_and_b32_e32 v3, v3, v11
	s_delay_alu instid0(VALU_DEP_1) | instskip(SKIP_1) | instid1(VALU_DEP_1)
	v_mul_u64_e32 v[2:3], 24, v[2:3]
	s_wait_loadcnt 0x0
	v_add_nc_u64_e32 v[2:3], v[8:9], v[2:3]
	global_load_b64 v[8:9], v[2:3], off scope:SCOPE_SYS
	s_wait_xcnt 0x0
	s_wait_loadcnt 0x0
	global_atomic_cmpswap_b64 v[8:9], v0, v[8:11], s[2:3] offset:24 th:TH_ATOMIC_RETURN scope:SCOPE_SYS
	s_wait_loadcnt 0x0
	global_inv scope:SCOPE_SYS
	s_wait_xcnt 0x0
	v_cmpx_ne_u64_e64 v[8:9], v[10:11]
	s_cbranch_execz .LBB3_254
; %bb.251:
	s_mov_b32 s5, 0
.LBB3_252:                              ; =>This Inner Loop Header: Depth=1
	s_sleep 1
	s_clause 0x1
	global_load_b64 v[2:3], v0, s[2:3] offset:40
	global_load_b64 v[12:13], v0, s[2:3]
	v_mov_b64_e32 v[10:11], v[8:9]
	s_wait_loadcnt 0x1
	s_delay_alu instid0(VALU_DEP_1) | instskip(SKIP_1) | instid1(VALU_DEP_1)
	v_and_b32_e32 v1, v2, v10
	s_wait_loadcnt 0x0
	v_mad_nc_u64_u32 v[8:9], v1, 24, v[12:13]
	s_delay_alu instid0(VALU_DEP_3) | instskip(NEXT) | instid1(VALU_DEP_1)
	v_and_b32_e32 v1, v3, v11
	v_mad_u32 v9, v1, 24, v9
	global_load_b64 v[8:9], v[8:9], off scope:SCOPE_SYS
	s_wait_xcnt 0x0
	s_wait_loadcnt 0x0
	global_atomic_cmpswap_b64 v[8:9], v0, v[8:11], s[2:3] offset:24 th:TH_ATOMIC_RETURN scope:SCOPE_SYS
	s_wait_loadcnt 0x0
	global_inv scope:SCOPE_SYS
	v_cmp_eq_u64_e32 vcc_lo, v[8:9], v[10:11]
	s_or_b32 s5, vcc_lo, s5
	s_wait_xcnt 0x0
	s_and_not1_b32 exec_lo, exec_lo, s5
	s_cbranch_execnz .LBB3_252
; %bb.253:
	s_or_b32 exec_lo, exec_lo, s5
.LBB3_254:
	s_delay_alu instid0(SALU_CYCLE_1)
	s_or_b32 exec_lo, exec_lo, s4
.LBB3_255:
	s_delay_alu instid0(SALU_CYCLE_1)
	s_or_b32 exec_lo, exec_lo, s1
	v_readfirstlane_b32 s4, v8
	v_mov_b32_e32 v31, 0
	v_readfirstlane_b32 s5, v9
	s_mov_b32 s1, exec_lo
	global_load_b64 v[10:11], v31, s[2:3] offset:40
	s_wait_loadcnt 0x1
	global_load_b128 v[0:3], v31, s[2:3]
	s_wait_loadcnt 0x1
	v_and_b32_e32 v8, s4, v10
	v_and_b32_e32 v9, s5, v11
	s_delay_alu instid0(VALU_DEP_1) | instskip(SKIP_1) | instid1(VALU_DEP_1)
	v_mul_u64_e32 v[10:11], 24, v[8:9]
	s_wait_loadcnt 0x0
	v_add_nc_u64_e32 v[10:11], v[0:1], v[10:11]
	s_wait_xcnt 0x0
	s_and_saveexec_b32 s6, s0
	s_cbranch_execz .LBB3_257
; %bb.256:
	v_mov_b64_e32 v[14:15], 0x100000002
	v_dual_mov_b32 v12, s1 :: v_dual_mov_b32 v13, v31
	global_store_b128 v[10:11], v[12:15], off offset:8
.LBB3_257:
	s_wait_xcnt 0x0
	s_or_b32 exec_lo, exec_lo, s6
	v_lshlrev_b64_e32 v[8:9], 12, v[8:9]
	s_mov_b32 s12, 0
	v_and_or_b32 v6, 0xffffff1f, v6, 32
	s_mov_b32 s14, s12
	s_mov_b32 s15, s12
	s_mov_b32 s13, s12
	v_mov_b64_e32 v[16:17], s[14:15]
	v_add_nc_u64_e32 v[12:13], v[2:3], v[8:9]
	v_mov_b64_e32 v[14:15], s[12:13]
	v_dual_mov_b32 v8, 0x331 :: v_dual_mov_b32 v9, v31
	s_delay_alu instid0(VALU_DEP_3) | instskip(NEXT) | instid1(VALU_DEP_4)
	v_readfirstlane_b32 s6, v12
	v_readfirstlane_b32 s7, v13
	s_clause 0x3
	global_store_b128 v30, v[6:9], s[6:7]
	global_store_b128 v30, v[14:17], s[6:7] offset:16
	global_store_b128 v30, v[14:17], s[6:7] offset:32
	;; [unrolled: 1-line block ×3, first 2 shown]
	s_wait_xcnt 0x0
	s_and_saveexec_b32 s1, s0
	s_cbranch_execz .LBB3_265
; %bb.258:
	v_dual_mov_b32 v8, 0 :: v_dual_mov_b32 v15, s5
	s_mov_b32 s6, exec_lo
	s_clause 0x1
	global_load_b64 v[16:17], v8, s[2:3] offset:32 scope:SCOPE_SYS
	global_load_b64 v[2:3], v8, s[2:3] offset:40
	s_wait_loadcnt 0x0
	v_dual_mov_b32 v14, s4 :: v_dual_bitop2_b32 v3, s5, v3 bitop3:0x40
	v_and_b32_e32 v2, s4, v2
	s_delay_alu instid0(VALU_DEP_1) | instskip(NEXT) | instid1(VALU_DEP_1)
	v_mul_u64_e32 v[2:3], 24, v[2:3]
	v_add_nc_u64_e32 v[6:7], v[0:1], v[2:3]
	global_store_b64 v[6:7], v[16:17], off
	global_wb scope:SCOPE_SYS
	s_wait_storecnt 0x0
	s_wait_xcnt 0x0
	global_atomic_cmpswap_b64 v[2:3], v8, v[14:17], s[2:3] offset:32 th:TH_ATOMIC_RETURN scope:SCOPE_SYS
	s_wait_loadcnt 0x0
	v_cmpx_ne_u64_e64 v[2:3], v[16:17]
	s_cbranch_execz .LBB3_261
; %bb.259:
	s_mov_b32 s7, 0
.LBB3_260:                              ; =>This Inner Loop Header: Depth=1
	v_dual_mov_b32 v0, s4 :: v_dual_mov_b32 v1, s5
	s_sleep 1
	global_store_b64 v[6:7], v[2:3], off
	global_wb scope:SCOPE_SYS
	s_wait_storecnt 0x0
	s_wait_xcnt 0x0
	global_atomic_cmpswap_b64 v[0:1], v8, v[0:3], s[2:3] offset:32 th:TH_ATOMIC_RETURN scope:SCOPE_SYS
	s_wait_loadcnt 0x0
	v_cmp_eq_u64_e32 vcc_lo, v[0:1], v[2:3]
	v_mov_b64_e32 v[2:3], v[0:1]
	s_or_b32 s7, vcc_lo, s7
	s_delay_alu instid0(SALU_CYCLE_1)
	s_and_not1_b32 exec_lo, exec_lo, s7
	s_cbranch_execnz .LBB3_260
.LBB3_261:
	s_or_b32 exec_lo, exec_lo, s6
	v_mov_b32_e32 v3, 0
	s_mov_b32 s7, exec_lo
	s_mov_b32 s6, exec_lo
	v_mbcnt_lo_u32_b32 v2, s7, 0
	global_load_b64 v[0:1], v3, s[2:3] offset:16
	s_wait_xcnt 0x0
	v_cmpx_eq_u32_e32 0, v2
	s_cbranch_execz .LBB3_263
; %bb.262:
	s_bcnt1_i32_b32 s7, s7
	s_delay_alu instid0(SALU_CYCLE_1)
	v_mov_b32_e32 v2, s7
	global_wb scope:SCOPE_SYS
	s_wait_loadcnt 0x0
	s_wait_storecnt 0x0
	global_atomic_add_u64 v[0:1], v[2:3], off offset:8 scope:SCOPE_SYS
.LBB3_263:
	s_wait_xcnt 0x0
	s_or_b32 exec_lo, exec_lo, s6
	s_wait_loadcnt 0x0
	global_load_b64 v[2:3], v[0:1], off offset:16
	s_wait_loadcnt 0x0
	v_cmp_eq_u64_e32 vcc_lo, 0, v[2:3]
	s_cbranch_vccnz .LBB3_265
; %bb.264:
	global_load_b32 v0, v[0:1], off offset:24
	s_wait_xcnt 0x0
	v_mov_b32_e32 v1, 0
	s_wait_loadcnt 0x0
	v_readfirstlane_b32 s6, v0
	global_wb scope:SCOPE_SYS
	s_wait_storecnt 0x0
	global_store_b64 v[2:3], v[0:1], off scope:SCOPE_SYS
	s_and_b32 m0, s6, 0xffffff
	s_sendmsg sendmsg(MSG_INTERRUPT)
.LBB3_265:
	s_wait_xcnt 0x0
	s_or_b32 exec_lo, exec_lo, s1
	v_add_nc_u64_e32 v[0:1], v[12:13], v[30:31]
	s_branch .LBB3_269
.LBB3_266:                              ;   in Loop: Header=BB3_269 Depth=1
	s_wait_xcnt 0x0
	s_or_b32 exec_lo, exec_lo, s1
	s_delay_alu instid0(VALU_DEP_1)
	v_readfirstlane_b32 s1, v2
	s_cmp_eq_u32 s1, 0
	s_cbranch_scc1 .LBB3_268
; %bb.267:                              ;   in Loop: Header=BB3_269 Depth=1
	s_sleep 1
	s_cbranch_execnz .LBB3_269
	s_branch .LBB3_271
.LBB3_268:
	s_branch .LBB3_271
.LBB3_269:                              ; =>This Inner Loop Header: Depth=1
	v_mov_b32_e32 v2, 1
	s_and_saveexec_b32 s1, s0
	s_cbranch_execz .LBB3_266
; %bb.270:                              ;   in Loop: Header=BB3_269 Depth=1
	global_load_b32 v2, v[10:11], off offset:20 scope:SCOPE_SYS
	s_wait_loadcnt 0x0
	global_inv scope:SCOPE_SYS
	v_and_b32_e32 v2, 1, v2
	s_branch .LBB3_266
.LBB3_271:
	global_load_b64 v[0:1], v[0:1], off
	s_wait_xcnt 0x0
	s_and_saveexec_b32 s6, s0
	s_cbranch_execz .LBB3_275
; %bb.272:
	v_mov_b32_e32 v10, 0
	s_clause 0x2
	global_load_b64 v[2:3], v10, s[2:3] offset:40
	global_load_b64 v[14:15], v10, s[2:3] offset:24 scope:SCOPE_SYS
	global_load_b64 v[6:7], v10, s[2:3]
	s_wait_loadcnt 0x2
	v_readfirstlane_b32 s10, v2
	v_readfirstlane_b32 s11, v3
	s_add_nc_u64 s[0:1], s[10:11], 1
	s_delay_alu instid0(SALU_CYCLE_1) | instskip(NEXT) | instid1(SALU_CYCLE_1)
	s_add_nc_u64 s[4:5], s[0:1], s[4:5]
	s_cmp_eq_u64 s[4:5], 0
	s_cselect_b32 s1, s1, s5
	s_cselect_b32 s0, s0, s4
	v_mov_b32_e32 v13, s1
	s_and_b64 s[4:5], s[0:1], s[10:11]
	v_mov_b32_e32 v12, s0
	s_mul_u64 s[4:5], s[4:5], 24
	s_wait_loadcnt 0x0
	v_add_nc_u64_e32 v[2:3], s[4:5], v[6:7]
	global_store_b64 v[2:3], v[14:15], off
	global_wb scope:SCOPE_SYS
	s_wait_storecnt 0x0
	s_wait_xcnt 0x0
	global_atomic_cmpswap_b64 v[8:9], v10, v[12:15], s[2:3] offset:24 th:TH_ATOMIC_RETURN scope:SCOPE_SYS
	s_wait_loadcnt 0x0
	v_cmp_ne_u64_e32 vcc_lo, v[8:9], v[14:15]
	s_and_b32 exec_lo, exec_lo, vcc_lo
	s_cbranch_execz .LBB3_275
; %bb.273:
	s_mov_b32 s4, 0
.LBB3_274:                              ; =>This Inner Loop Header: Depth=1
	v_dual_mov_b32 v6, s0 :: v_dual_mov_b32 v7, s1
	s_sleep 1
	global_store_b64 v[2:3], v[8:9], off
	global_wb scope:SCOPE_SYS
	s_wait_storecnt 0x0
	s_wait_xcnt 0x0
	global_atomic_cmpswap_b64 v[6:7], v10, v[6:9], s[2:3] offset:24 th:TH_ATOMIC_RETURN scope:SCOPE_SYS
	s_wait_loadcnt 0x0
	v_cmp_eq_u64_e32 vcc_lo, v[6:7], v[8:9]
	v_mov_b64_e32 v[8:9], v[6:7]
	s_or_b32 s4, vcc_lo, s4
	s_delay_alu instid0(SALU_CYCLE_1)
	s_and_not1_b32 exec_lo, exec_lo, s4
	s_cbranch_execnz .LBB3_274
.LBB3_275:
	s_or_b32 exec_lo, exec_lo, s6
	v_mov_b64_e32 v[2:3], v[4:5]
	s_mov_b32 s0, 0
.LBB3_276:                              ; =>This Inner Loop Header: Depth=1
	global_load_u8 v6, v[2:3], off
	s_wait_xcnt 0x0
	v_add_nc_u64_e32 v[2:3], 1, v[2:3]
	s_wait_loadcnt 0x0
	v_cmp_eq_u16_e32 vcc_lo, 0, v6
	s_or_b32 s0, vcc_lo, s0
	s_delay_alu instid0(SALU_CYCLE_1)
	s_and_not1_b32 exec_lo, exec_lo, s0
	s_cbranch_execnz .LBB3_276
; %bb.277:
	s_or_b32 exec_lo, exec_lo, s0
	s_delay_alu instid0(SALU_CYCLE_1)
	s_mov_b32 s0, exec_lo
	v_cmpx_ne_u64_e32 0, v[4:5]
	s_xor_b32 s6, exec_lo, s0
	s_cbranch_execz .LBB3_363
; %bb.278:
	v_dual_mov_b32 v31, 0 :: v_dual_sub_nc_u32 v26, v2, v4
	v_mov_b64_e32 v[8:9], 0x100000002
	v_and_b32_e32 v28, 2, v0
	s_delay_alu instid0(VALU_DEP_3)
	v_dual_ashrrev_i32 v27, 31, v26 :: v_dual_bitop2_b32 v0, -3, v0 bitop3:0x40
	s_mov_b32 s10, 0
	s_mov_b32 s7, 0
	s_branch .LBB3_280
.LBB3_279:                              ;   in Loop: Header=BB3_280 Depth=1
	s_or_b32 exec_lo, exec_lo, s11
	v_sub_nc_u64_e32 v[26:27], v[26:27], v[32:33]
	v_add_nc_u64_e32 v[4:5], v[4:5], v[32:33]
	s_delay_alu instid0(VALU_DEP_2) | instskip(SKIP_1) | instid1(SALU_CYCLE_1)
	v_cmp_eq_u64_e32 vcc_lo, 0, v[26:27]
	s_or_b32 s7, vcc_lo, s7
	s_and_not1_b32 exec_lo, exec_lo, s7
	s_cbranch_execz .LBB3_362
.LBB3_280:                              ; =>This Loop Header: Depth=1
                                        ;     Child Loop BB3_283 Depth 2
                                        ;     Child Loop BB3_291 Depth 2
                                        ;     Child Loop BB3_299 Depth 2
                                        ;     Child Loop BB3_307 Depth 2
                                        ;     Child Loop BB3_315 Depth 2
                                        ;     Child Loop BB3_323 Depth 2
                                        ;     Child Loop BB3_331 Depth 2
                                        ;     Child Loop BB3_339 Depth 2
                                        ;     Child Loop BB3_347 Depth 2
                                        ;     Child Loop BB3_356 Depth 2
                                        ;     Child Loop BB3_361 Depth 2
	s_delay_alu instid0(VALU_DEP_1) | instskip(NEXT) | instid1(VALU_DEP_3)
	v_min_u64 v[32:33], v[26:27], 56
	v_add_nc_u64_e32 v[12:13], 8, v[4:5]
	s_mov_b32 s0, exec_lo
	v_cmpx_gt_u64_e32 8, v[26:27]
	s_xor_b32 s4, exec_lo, s0
	s_cbranch_execz .LBB3_286
; %bb.281:                              ;   in Loop: Header=BB3_280 Depth=1
	v_mov_b64_e32 v[2:3], 0
	s_mov_b32 s5, exec_lo
	v_cmpx_ne_u64_e32 0, v[26:27]
	s_cbranch_execz .LBB3_285
; %bb.282:                              ;   in Loop: Header=BB3_280 Depth=1
	v_mov_b64_e32 v[2:3], 0
	v_mov_b64_e32 v[10:11], v[4:5]
	v_lshlrev_b32_e32 v6, 3, v32
	s_mov_b64 s[0:1], 0
	s_mov_b32 s11, 0
.LBB3_283:                              ;   Parent Loop BB3_280 Depth=1
                                        ; =>  This Inner Loop Header: Depth=2
	global_load_u8 v7, v[10:11], off
	v_mov_b32_e32 v13, s10
	s_wait_xcnt 0x0
	v_add_nc_u64_e32 v[10:11], 1, v[10:11]
	s_wait_loadcnt 0x0
	v_and_b32_e32 v12, 0xffff, v7
	s_delay_alu instid0(VALU_DEP_1) | instskip(SKIP_1) | instid1(SALU_CYCLE_1)
	v_lshlrev_b64_e32 v[12:13], s0, v[12:13]
	s_add_nc_u64 s[0:1], s[0:1], 8
	v_cmp_eq_u32_e32 vcc_lo, s0, v6
	s_delay_alu instid0(VALU_DEP_2) | instskip(NEXT) | instid1(VALU_DEP_3)
	v_or_b32_e32 v3, v13, v3
	v_or_b32_e32 v2, v12, v2
	s_or_b32 s11, vcc_lo, s11
	s_delay_alu instid0(SALU_CYCLE_1)
	s_and_not1_b32 exec_lo, exec_lo, s11
	s_cbranch_execnz .LBB3_283
; %bb.284:                              ;   in Loop: Header=BB3_280 Depth=1
	s_or_b32 exec_lo, exec_lo, s11
.LBB3_285:                              ;   in Loop: Header=BB3_280 Depth=1
	s_delay_alu instid0(SALU_CYCLE_1)
	s_or_b32 exec_lo, exec_lo, s5
	v_mov_b64_e32 v[12:13], v[4:5]
.LBB3_286:                              ;   in Loop: Header=BB3_280 Depth=1
	s_or_saveexec_b32 s0, s4
	v_mov_b32_e32 v14, 0
	s_xor_b32 exec_lo, exec_lo, s0
	s_cbranch_execz .LBB3_288
; %bb.287:                              ;   in Loop: Header=BB3_280 Depth=1
	global_load_b64 v[2:3], v[4:5], off
	v_add_nc_u32_e32 v14, -8, v32
.LBB3_288:                              ;   in Loop: Header=BB3_280 Depth=1
	s_wait_xcnt 0x0
	s_or_b32 exec_lo, exec_lo, s0
	v_add_nc_u64_e32 v[6:7], 8, v[12:13]
                                        ; implicit-def: $vgpr10_vgpr11
	s_mov_b32 s0, exec_lo
	v_cmpx_gt_u32_e32 8, v14
	s_xor_b32 s11, exec_lo, s0
	s_cbranch_execz .LBB3_294
; %bb.289:                              ;   in Loop: Header=BB3_280 Depth=1
	v_mov_b64_e32 v[10:11], 0
	s_mov_b32 s12, exec_lo
	v_cmpx_ne_u32_e32 0, v14
	s_cbranch_execz .LBB3_293
; %bb.290:                              ;   in Loop: Header=BB3_280 Depth=1
	v_mov_b64_e32 v[10:11], 0
	s_mov_b64 s[0:1], 0
	s_mov_b32 s13, 0
	s_mov_b64 s[4:5], 0
.LBB3_291:                              ;   Parent Loop BB3_280 Depth=1
                                        ; =>  This Inner Loop Header: Depth=2
	s_delay_alu instid0(SALU_CYCLE_1) | instskip(SKIP_1) | instid1(SALU_CYCLE_1)
	v_add_nc_u64_e32 v[6:7], s[4:5], v[12:13]
	s_add_nc_u64 s[4:5], s[4:5], 1
	v_cmp_eq_u32_e32 vcc_lo, s4, v14
	global_load_u8 v6, v[6:7], off
	s_wait_xcnt 0x0
	v_mov_b32_e32 v7, s10
	s_or_b32 s13, vcc_lo, s13
	s_wait_loadcnt 0x0
	v_and_b32_e32 v6, 0xffff, v6
	s_delay_alu instid0(VALU_DEP_1) | instskip(SKIP_1) | instid1(VALU_DEP_1)
	v_lshlrev_b64_e32 v[6:7], s0, v[6:7]
	s_add_nc_u64 s[0:1], s[0:1], 8
	v_or_b32_e32 v11, v7, v11
	s_delay_alu instid0(VALU_DEP_2)
	v_or_b32_e32 v10, v6, v10
	s_and_not1_b32 exec_lo, exec_lo, s13
	s_cbranch_execnz .LBB3_291
; %bb.292:                              ;   in Loop: Header=BB3_280 Depth=1
	s_or_b32 exec_lo, exec_lo, s13
.LBB3_293:                              ;   in Loop: Header=BB3_280 Depth=1
	s_delay_alu instid0(SALU_CYCLE_1)
	s_or_b32 exec_lo, exec_lo, s12
	v_mov_b64_e32 v[6:7], v[12:13]
                                        ; implicit-def: $vgpr14
.LBB3_294:                              ;   in Loop: Header=BB3_280 Depth=1
	s_or_saveexec_b32 s0, s11
	v_mov_b32_e32 v15, 0
	s_xor_b32 exec_lo, exec_lo, s0
	s_cbranch_execz .LBB3_296
; %bb.295:                              ;   in Loop: Header=BB3_280 Depth=1
	global_load_b64 v[10:11], v[12:13], off
	v_add_nc_u32_e32 v15, -8, v14
.LBB3_296:                              ;   in Loop: Header=BB3_280 Depth=1
	s_wait_xcnt 0x0
	s_or_b32 exec_lo, exec_lo, s0
	v_add_nc_u64_e32 v[16:17], 8, v[6:7]
	s_mov_b32 s0, exec_lo
	v_cmpx_gt_u32_e32 8, v15
	s_xor_b32 s11, exec_lo, s0
	s_cbranch_execz .LBB3_302
; %bb.297:                              ;   in Loop: Header=BB3_280 Depth=1
	v_mov_b64_e32 v[12:13], 0
	s_mov_b32 s12, exec_lo
	v_cmpx_ne_u32_e32 0, v15
	s_cbranch_execz .LBB3_301
; %bb.298:                              ;   in Loop: Header=BB3_280 Depth=1
	v_mov_b64_e32 v[12:13], 0
	s_mov_b64 s[0:1], 0
	s_mov_b32 s13, 0
	s_mov_b64 s[4:5], 0
.LBB3_299:                              ;   Parent Loop BB3_280 Depth=1
                                        ; =>  This Inner Loop Header: Depth=2
	s_delay_alu instid0(SALU_CYCLE_1) | instskip(SKIP_1) | instid1(SALU_CYCLE_1)
	v_add_nc_u64_e32 v[16:17], s[4:5], v[6:7]
	s_add_nc_u64 s[4:5], s[4:5], 1
	v_cmp_eq_u32_e32 vcc_lo, s4, v15
	global_load_u8 v14, v[16:17], off
	s_wait_xcnt 0x0
	v_mov_b32_e32 v17, s10
	s_or_b32 s13, vcc_lo, s13
	s_wait_loadcnt 0x0
	v_and_b32_e32 v16, 0xffff, v14
	s_delay_alu instid0(VALU_DEP_1) | instskip(SKIP_1) | instid1(VALU_DEP_1)
	v_lshlrev_b64_e32 v[16:17], s0, v[16:17]
	s_add_nc_u64 s[0:1], s[0:1], 8
	v_or_b32_e32 v13, v17, v13
	s_delay_alu instid0(VALU_DEP_2)
	v_or_b32_e32 v12, v16, v12
	s_and_not1_b32 exec_lo, exec_lo, s13
	s_cbranch_execnz .LBB3_299
; %bb.300:                              ;   in Loop: Header=BB3_280 Depth=1
	s_or_b32 exec_lo, exec_lo, s13
.LBB3_301:                              ;   in Loop: Header=BB3_280 Depth=1
	s_delay_alu instid0(SALU_CYCLE_1)
	s_or_b32 exec_lo, exec_lo, s12
	v_mov_b64_e32 v[16:17], v[6:7]
                                        ; implicit-def: $vgpr15
.LBB3_302:                              ;   in Loop: Header=BB3_280 Depth=1
	s_or_saveexec_b32 s0, s11
	v_mov_b32_e32 v18, 0
	s_xor_b32 exec_lo, exec_lo, s0
	s_cbranch_execz .LBB3_304
; %bb.303:                              ;   in Loop: Header=BB3_280 Depth=1
	global_load_b64 v[12:13], v[6:7], off
	v_add_nc_u32_e32 v18, -8, v15
.LBB3_304:                              ;   in Loop: Header=BB3_280 Depth=1
	s_wait_xcnt 0x0
	s_or_b32 exec_lo, exec_lo, s0
	v_add_nc_u64_e32 v[6:7], 8, v[16:17]
                                        ; implicit-def: $vgpr14_vgpr15
	s_mov_b32 s0, exec_lo
	v_cmpx_gt_u32_e32 8, v18
	s_xor_b32 s11, exec_lo, s0
	s_cbranch_execz .LBB3_310
; %bb.305:                              ;   in Loop: Header=BB3_280 Depth=1
	v_mov_b64_e32 v[14:15], 0
	s_mov_b32 s12, exec_lo
	v_cmpx_ne_u32_e32 0, v18
	s_cbranch_execz .LBB3_309
; %bb.306:                              ;   in Loop: Header=BB3_280 Depth=1
	v_mov_b64_e32 v[14:15], 0
	s_mov_b64 s[0:1], 0
	s_mov_b32 s13, 0
	s_mov_b64 s[4:5], 0
.LBB3_307:                              ;   Parent Loop BB3_280 Depth=1
                                        ; =>  This Inner Loop Header: Depth=2
	s_delay_alu instid0(SALU_CYCLE_1) | instskip(SKIP_1) | instid1(SALU_CYCLE_1)
	v_add_nc_u64_e32 v[6:7], s[4:5], v[16:17]
	s_add_nc_u64 s[4:5], s[4:5], 1
	v_cmp_eq_u32_e32 vcc_lo, s4, v18
	global_load_u8 v6, v[6:7], off
	s_wait_xcnt 0x0
	v_mov_b32_e32 v7, s10
	s_or_b32 s13, vcc_lo, s13
	s_wait_loadcnt 0x0
	v_and_b32_e32 v6, 0xffff, v6
	s_delay_alu instid0(VALU_DEP_1) | instskip(SKIP_1) | instid1(VALU_DEP_1)
	v_lshlrev_b64_e32 v[6:7], s0, v[6:7]
	s_add_nc_u64 s[0:1], s[0:1], 8
	v_or_b32_e32 v15, v7, v15
	s_delay_alu instid0(VALU_DEP_2)
	v_or_b32_e32 v14, v6, v14
	s_and_not1_b32 exec_lo, exec_lo, s13
	s_cbranch_execnz .LBB3_307
; %bb.308:                              ;   in Loop: Header=BB3_280 Depth=1
	s_or_b32 exec_lo, exec_lo, s13
.LBB3_309:                              ;   in Loop: Header=BB3_280 Depth=1
	s_delay_alu instid0(SALU_CYCLE_1)
	s_or_b32 exec_lo, exec_lo, s12
	v_mov_b64_e32 v[6:7], v[16:17]
                                        ; implicit-def: $vgpr18
.LBB3_310:                              ;   in Loop: Header=BB3_280 Depth=1
	s_or_saveexec_b32 s0, s11
	v_mov_b32_e32 v19, 0
	s_xor_b32 exec_lo, exec_lo, s0
	s_cbranch_execz .LBB3_312
; %bb.311:                              ;   in Loop: Header=BB3_280 Depth=1
	global_load_b64 v[14:15], v[16:17], off
	v_add_nc_u32_e32 v19, -8, v18
.LBB3_312:                              ;   in Loop: Header=BB3_280 Depth=1
	s_wait_xcnt 0x0
	s_or_b32 exec_lo, exec_lo, s0
	v_add_nc_u64_e32 v[20:21], 8, v[6:7]
	s_mov_b32 s0, exec_lo
	v_cmpx_gt_u32_e32 8, v19
	s_xor_b32 s11, exec_lo, s0
	s_cbranch_execz .LBB3_318
; %bb.313:                              ;   in Loop: Header=BB3_280 Depth=1
	v_mov_b64_e32 v[16:17], 0
	s_mov_b32 s12, exec_lo
	v_cmpx_ne_u32_e32 0, v19
	s_cbranch_execz .LBB3_317
; %bb.314:                              ;   in Loop: Header=BB3_280 Depth=1
	v_mov_b64_e32 v[16:17], 0
	s_mov_b64 s[0:1], 0
	s_mov_b32 s13, 0
	s_mov_b64 s[4:5], 0
.LBB3_315:                              ;   Parent Loop BB3_280 Depth=1
                                        ; =>  This Inner Loop Header: Depth=2
	s_delay_alu instid0(SALU_CYCLE_1) | instskip(SKIP_1) | instid1(SALU_CYCLE_1)
	v_add_nc_u64_e32 v[20:21], s[4:5], v[6:7]
	s_add_nc_u64 s[4:5], s[4:5], 1
	v_cmp_eq_u32_e32 vcc_lo, s4, v19
	global_load_u8 v18, v[20:21], off
	s_wait_xcnt 0x0
	v_mov_b32_e32 v21, s10
	s_or_b32 s13, vcc_lo, s13
	s_wait_loadcnt 0x0
	v_and_b32_e32 v20, 0xffff, v18
	s_delay_alu instid0(VALU_DEP_1) | instskip(SKIP_1) | instid1(VALU_DEP_1)
	v_lshlrev_b64_e32 v[20:21], s0, v[20:21]
	s_add_nc_u64 s[0:1], s[0:1], 8
	v_or_b32_e32 v17, v21, v17
	s_delay_alu instid0(VALU_DEP_2)
	v_or_b32_e32 v16, v20, v16
	s_and_not1_b32 exec_lo, exec_lo, s13
	s_cbranch_execnz .LBB3_315
; %bb.316:                              ;   in Loop: Header=BB3_280 Depth=1
	s_or_b32 exec_lo, exec_lo, s13
.LBB3_317:                              ;   in Loop: Header=BB3_280 Depth=1
	s_delay_alu instid0(SALU_CYCLE_1)
	s_or_b32 exec_lo, exec_lo, s12
	v_mov_b64_e32 v[20:21], v[6:7]
                                        ; implicit-def: $vgpr19
.LBB3_318:                              ;   in Loop: Header=BB3_280 Depth=1
	s_or_saveexec_b32 s0, s11
	v_mov_b32_e32 v22, 0
	s_xor_b32 exec_lo, exec_lo, s0
	s_cbranch_execz .LBB3_320
; %bb.319:                              ;   in Loop: Header=BB3_280 Depth=1
	global_load_b64 v[16:17], v[6:7], off
	v_add_nc_u32_e32 v22, -8, v19
.LBB3_320:                              ;   in Loop: Header=BB3_280 Depth=1
	s_wait_xcnt 0x0
	s_or_b32 exec_lo, exec_lo, s0
	v_add_nc_u64_e32 v[6:7], 8, v[20:21]
                                        ; implicit-def: $vgpr18_vgpr19
	s_mov_b32 s0, exec_lo
	v_cmpx_gt_u32_e32 8, v22
	s_xor_b32 s11, exec_lo, s0
	s_cbranch_execz .LBB3_326
; %bb.321:                              ;   in Loop: Header=BB3_280 Depth=1
	v_mov_b64_e32 v[18:19], 0
	s_mov_b32 s12, exec_lo
	v_cmpx_ne_u32_e32 0, v22
	s_cbranch_execz .LBB3_325
; %bb.322:                              ;   in Loop: Header=BB3_280 Depth=1
	v_mov_b64_e32 v[18:19], 0
	s_mov_b64 s[0:1], 0
	s_mov_b32 s13, 0
	s_mov_b64 s[4:5], 0
.LBB3_323:                              ;   Parent Loop BB3_280 Depth=1
                                        ; =>  This Inner Loop Header: Depth=2
	s_delay_alu instid0(SALU_CYCLE_1) | instskip(SKIP_1) | instid1(SALU_CYCLE_1)
	v_add_nc_u64_e32 v[6:7], s[4:5], v[20:21]
	s_add_nc_u64 s[4:5], s[4:5], 1
	v_cmp_eq_u32_e32 vcc_lo, s4, v22
	global_load_u8 v6, v[6:7], off
	s_wait_xcnt 0x0
	v_mov_b32_e32 v7, s10
	s_or_b32 s13, vcc_lo, s13
	s_wait_loadcnt 0x0
	v_and_b32_e32 v6, 0xffff, v6
	s_delay_alu instid0(VALU_DEP_1) | instskip(SKIP_1) | instid1(VALU_DEP_1)
	v_lshlrev_b64_e32 v[6:7], s0, v[6:7]
	s_add_nc_u64 s[0:1], s[0:1], 8
	v_or_b32_e32 v19, v7, v19
	s_delay_alu instid0(VALU_DEP_2)
	v_or_b32_e32 v18, v6, v18
	s_and_not1_b32 exec_lo, exec_lo, s13
	s_cbranch_execnz .LBB3_323
; %bb.324:                              ;   in Loop: Header=BB3_280 Depth=1
	s_or_b32 exec_lo, exec_lo, s13
.LBB3_325:                              ;   in Loop: Header=BB3_280 Depth=1
	s_delay_alu instid0(SALU_CYCLE_1)
	s_or_b32 exec_lo, exec_lo, s12
	v_mov_b64_e32 v[6:7], v[20:21]
                                        ; implicit-def: $vgpr22
.LBB3_326:                              ;   in Loop: Header=BB3_280 Depth=1
	s_or_saveexec_b32 s0, s11
	v_mov_b32_e32 v23, 0
	s_xor_b32 exec_lo, exec_lo, s0
	s_cbranch_execz .LBB3_328
; %bb.327:                              ;   in Loop: Header=BB3_280 Depth=1
	global_load_b64 v[18:19], v[20:21], off
	v_add_nc_u32_e32 v23, -8, v22
.LBB3_328:                              ;   in Loop: Header=BB3_280 Depth=1
	s_wait_xcnt 0x0
	s_or_b32 exec_lo, exec_lo, s0
	s_delay_alu instid0(SALU_CYCLE_1) | instskip(NEXT) | instid1(VALU_DEP_1)
	s_mov_b32 s0, exec_lo
	v_cmpx_gt_u32_e32 8, v23
	s_xor_b32 s4, exec_lo, s0
	s_cbranch_execz .LBB3_334
; %bb.329:                              ;   in Loop: Header=BB3_280 Depth=1
	v_mov_b64_e32 v[20:21], 0
	s_mov_b32 s5, exec_lo
	v_cmpx_ne_u32_e32 0, v23
	s_cbranch_execz .LBB3_333
; %bb.330:                              ;   in Loop: Header=BB3_280 Depth=1
	v_mov_b64_e32 v[20:21], 0
	s_mov_b64 s[0:1], 0
	s_mov_b32 s11, 0
.LBB3_331:                              ;   Parent Loop BB3_280 Depth=1
                                        ; =>  This Inner Loop Header: Depth=2
	global_load_u8 v22, v[6:7], off
	v_dual_mov_b32 v25, s10 :: v_dual_add_nc_u32 v23, -1, v23
	s_wait_xcnt 0x0
	v_add_nc_u64_e32 v[6:7], 1, v[6:7]
	s_delay_alu instid0(VALU_DEP_2) | instskip(SKIP_3) | instid1(VALU_DEP_1)
	v_cmp_eq_u32_e32 vcc_lo, 0, v23
	s_or_b32 s11, vcc_lo, s11
	s_wait_loadcnt 0x0
	v_and_b32_e32 v24, 0xffff, v22
	v_lshlrev_b64_e32 v[24:25], s0, v[24:25]
	s_add_nc_u64 s[0:1], s[0:1], 8
	s_delay_alu instid0(VALU_DEP_1) | instskip(NEXT) | instid1(VALU_DEP_2)
	v_or_b32_e32 v21, v25, v21
	v_or_b32_e32 v20, v24, v20
	s_and_not1_b32 exec_lo, exec_lo, s11
	s_cbranch_execnz .LBB3_331
; %bb.332:                              ;   in Loop: Header=BB3_280 Depth=1
	s_or_b32 exec_lo, exec_lo, s11
.LBB3_333:                              ;   in Loop: Header=BB3_280 Depth=1
	s_delay_alu instid0(SALU_CYCLE_1)
	s_or_b32 exec_lo, exec_lo, s5
                                        ; implicit-def: $vgpr6_vgpr7
.LBB3_334:                              ;   in Loop: Header=BB3_280 Depth=1
	s_and_not1_saveexec_b32 s0, s4
	s_cbranch_execz .LBB3_336
; %bb.335:                              ;   in Loop: Header=BB3_280 Depth=1
	global_load_b64 v[20:21], v[6:7], off
.LBB3_336:                              ;   in Loop: Header=BB3_280 Depth=1
	s_wait_xcnt 0x0
	s_or_b32 exec_lo, exec_lo, s0
	v_readfirstlane_b32 s0, v48
	v_mov_b64_e32 v[6:7], 0
	s_delay_alu instid0(VALU_DEP_2)
	v_cmp_eq_u32_e64 s0, s0, v48
	s_and_saveexec_b32 s1, s0
	s_cbranch_execz .LBB3_342
; %bb.337:                              ;   in Loop: Header=BB3_280 Depth=1
	global_load_b64 v[24:25], v31, s[2:3] offset:24 scope:SCOPE_SYS
	s_wait_loadcnt 0x0
	global_inv scope:SCOPE_SYS
	s_clause 0x1
	global_load_b64 v[6:7], v31, s[2:3] offset:40
	global_load_b64 v[22:23], v31, s[2:3]
	s_mov_b32 s4, exec_lo
	s_wait_loadcnt 0x1
	v_and_b32_e32 v6, v6, v24
	v_and_b32_e32 v7, v7, v25
	s_delay_alu instid0(VALU_DEP_1) | instskip(SKIP_1) | instid1(VALU_DEP_1)
	v_mul_u64_e32 v[6:7], 24, v[6:7]
	s_wait_loadcnt 0x0
	v_add_nc_u64_e32 v[6:7], v[22:23], v[6:7]
	global_load_b64 v[22:23], v[6:7], off scope:SCOPE_SYS
	s_wait_xcnt 0x0
	s_wait_loadcnt 0x0
	global_atomic_cmpswap_b64 v[6:7], v31, v[22:25], s[2:3] offset:24 th:TH_ATOMIC_RETURN scope:SCOPE_SYS
	s_wait_loadcnt 0x0
	global_inv scope:SCOPE_SYS
	s_wait_xcnt 0x0
	v_cmpx_ne_u64_e64 v[6:7], v[24:25]
	s_cbranch_execz .LBB3_341
; %bb.338:                              ;   in Loop: Header=BB3_280 Depth=1
	s_mov_b32 s5, 0
.LBB3_339:                              ;   Parent Loop BB3_280 Depth=1
                                        ; =>  This Inner Loop Header: Depth=2
	s_sleep 1
	s_clause 0x1
	global_load_b64 v[22:23], v31, s[2:3] offset:40
	global_load_b64 v[34:35], v31, s[2:3]
	v_mov_b64_e32 v[24:25], v[6:7]
	s_wait_loadcnt 0x1
	s_delay_alu instid0(VALU_DEP_1) | instskip(NEXT) | instid1(VALU_DEP_2)
	v_and_b32_e32 v6, v22, v24
	v_and_b32_e32 v22, v23, v25
	s_wait_loadcnt 0x0
	s_delay_alu instid0(VALU_DEP_2) | instskip(NEXT) | instid1(VALU_DEP_1)
	v_mad_nc_u64_u32 v[6:7], v6, 24, v[34:35]
	v_mad_u32 v7, v22, 24, v7
	global_load_b64 v[22:23], v[6:7], off scope:SCOPE_SYS
	s_wait_xcnt 0x0
	s_wait_loadcnt 0x0
	global_atomic_cmpswap_b64 v[6:7], v31, v[22:25], s[2:3] offset:24 th:TH_ATOMIC_RETURN scope:SCOPE_SYS
	s_wait_loadcnt 0x0
	global_inv scope:SCOPE_SYS
	v_cmp_eq_u64_e32 vcc_lo, v[6:7], v[24:25]
	s_or_b32 s5, vcc_lo, s5
	s_wait_xcnt 0x0
	s_and_not1_b32 exec_lo, exec_lo, s5
	s_cbranch_execnz .LBB3_339
; %bb.340:                              ;   in Loop: Header=BB3_280 Depth=1
	s_or_b32 exec_lo, exec_lo, s5
.LBB3_341:                              ;   in Loop: Header=BB3_280 Depth=1
	s_delay_alu instid0(SALU_CYCLE_1)
	s_or_b32 exec_lo, exec_lo, s4
.LBB3_342:                              ;   in Loop: Header=BB3_280 Depth=1
	s_delay_alu instid0(SALU_CYCLE_1)
	s_or_b32 exec_lo, exec_lo, s1
	s_clause 0x1
	global_load_b64 v[34:35], v31, s[2:3] offset:40
	global_load_b128 v[22:25], v31, s[2:3]
	v_readfirstlane_b32 s4, v6
	v_readfirstlane_b32 s5, v7
	s_mov_b32 s1, exec_lo
	s_wait_loadcnt 0x1
	v_and_b32_e32 v36, s4, v34
	v_and_b32_e32 v37, s5, v35
	s_delay_alu instid0(VALU_DEP_1) | instskip(SKIP_1) | instid1(VALU_DEP_1)
	v_mul_u64_e32 v[6:7], 24, v[36:37]
	s_wait_loadcnt 0x0
	v_add_nc_u64_e32 v[34:35], v[22:23], v[6:7]
	s_wait_xcnt 0x0
	s_and_saveexec_b32 s11, s0
	s_cbranch_execz .LBB3_344
; %bb.343:                              ;   in Loop: Header=BB3_280 Depth=1
	v_dual_mov_b32 v6, s1 :: v_dual_mov_b32 v7, v31
	global_store_b128 v[34:35], v[6:9], off offset:8
.LBB3_344:                              ;   in Loop: Header=BB3_280 Depth=1
	s_wait_xcnt 0x0
	s_or_b32 exec_lo, exec_lo, s11
	v_cmp_gt_u64_e32 vcc_lo, 57, v[26:27]
	v_lshlrev_b64_e32 v[6:7], 12, v[36:37]
	v_and_b32_e32 v0, 0xffffff1f, v0
	v_lshl_add_u32 v36, v32, 2, 28
	v_cndmask_b32_e32 v29, 0, v28, vcc_lo
	s_delay_alu instid0(VALU_DEP_4) | instskip(NEXT) | instid1(VALU_DEP_2)
	v_add_nc_u64_e32 v[6:7], v[24:25], v[6:7]
	v_or_b32_e32 v0, v0, v29
	s_delay_alu instid0(VALU_DEP_2) | instskip(NEXT) | instid1(VALU_DEP_3)
	v_readfirstlane_b32 s12, v6
	v_readfirstlane_b32 s13, v7
	s_delay_alu instid0(VALU_DEP_3)
	v_and_or_b32 v0, 0x1e0, v36, v0
	s_clause 0x3
	global_store_b128 v30, v[0:3], s[12:13]
	global_store_b128 v30, v[10:13], s[12:13] offset:16
	global_store_b128 v30, v[14:17], s[12:13] offset:32
	;; [unrolled: 1-line block ×3, first 2 shown]
	s_wait_xcnt 0x0
	s_and_saveexec_b32 s1, s0
	s_cbranch_execz .LBB3_352
; %bb.345:                              ;   in Loop: Header=BB3_280 Depth=1
	s_clause 0x1
	global_load_b64 v[14:15], v31, s[2:3] offset:32 scope:SCOPE_SYS
	global_load_b64 v[0:1], v31, s[2:3] offset:40
	s_mov_b32 s11, exec_lo
	v_dual_mov_b32 v12, s4 :: v_dual_mov_b32 v13, s5
	s_wait_loadcnt 0x0
	v_and_b32_e32 v1, s5, v1
	v_and_b32_e32 v0, s4, v0
	s_delay_alu instid0(VALU_DEP_1) | instskip(NEXT) | instid1(VALU_DEP_1)
	v_mul_u64_e32 v[0:1], 24, v[0:1]
	v_add_nc_u64_e32 v[10:11], v[22:23], v[0:1]
	global_store_b64 v[10:11], v[14:15], off
	global_wb scope:SCOPE_SYS
	s_wait_storecnt 0x0
	s_wait_xcnt 0x0
	global_atomic_cmpswap_b64 v[2:3], v31, v[12:15], s[2:3] offset:32 th:TH_ATOMIC_RETURN scope:SCOPE_SYS
	s_wait_loadcnt 0x0
	v_cmpx_ne_u64_e64 v[2:3], v[14:15]
	s_cbranch_execz .LBB3_348
; %bb.346:                              ;   in Loop: Header=BB3_280 Depth=1
	s_mov_b32 s12, 0
.LBB3_347:                              ;   Parent Loop BB3_280 Depth=1
                                        ; =>  This Inner Loop Header: Depth=2
	v_dual_mov_b32 v0, s4 :: v_dual_mov_b32 v1, s5
	s_sleep 1
	global_store_b64 v[10:11], v[2:3], off
	global_wb scope:SCOPE_SYS
	s_wait_storecnt 0x0
	s_wait_xcnt 0x0
	global_atomic_cmpswap_b64 v[0:1], v31, v[0:3], s[2:3] offset:32 th:TH_ATOMIC_RETURN scope:SCOPE_SYS
	s_wait_loadcnt 0x0
	v_cmp_eq_u64_e32 vcc_lo, v[0:1], v[2:3]
	v_mov_b64_e32 v[2:3], v[0:1]
	s_or_b32 s12, vcc_lo, s12
	s_delay_alu instid0(SALU_CYCLE_1)
	s_and_not1_b32 exec_lo, exec_lo, s12
	s_cbranch_execnz .LBB3_347
.LBB3_348:                              ;   in Loop: Header=BB3_280 Depth=1
	s_or_b32 exec_lo, exec_lo, s11
	global_load_b64 v[0:1], v31, s[2:3] offset:16
	s_mov_b32 s12, exec_lo
	s_mov_b32 s11, exec_lo
	v_mbcnt_lo_u32_b32 v2, s12, 0
	s_wait_xcnt 0x0
	s_delay_alu instid0(VALU_DEP_1)
	v_cmpx_eq_u32_e32 0, v2
	s_cbranch_execz .LBB3_350
; %bb.349:                              ;   in Loop: Header=BB3_280 Depth=1
	s_bcnt1_i32_b32 s12, s12
	s_delay_alu instid0(SALU_CYCLE_1)
	v_dual_mov_b32 v3, v31 :: v_dual_mov_b32 v2, s12
	global_wb scope:SCOPE_SYS
	s_wait_loadcnt 0x0
	s_wait_storecnt 0x0
	global_atomic_add_u64 v[0:1], v[2:3], off offset:8 scope:SCOPE_SYS
.LBB3_350:                              ;   in Loop: Header=BB3_280 Depth=1
	s_wait_xcnt 0x0
	s_or_b32 exec_lo, exec_lo, s11
	s_wait_loadcnt 0x0
	global_load_b64 v[2:3], v[0:1], off offset:16
	s_wait_loadcnt 0x0
	v_cmp_eq_u64_e32 vcc_lo, 0, v[2:3]
	s_cbranch_vccnz .LBB3_352
; %bb.351:                              ;   in Loop: Header=BB3_280 Depth=1
	global_load_b32 v0, v[0:1], off offset:24
	s_wait_xcnt 0x0
	v_mov_b32_e32 v1, v31
	s_wait_loadcnt 0x0
	v_readfirstlane_b32 s11, v0
	global_wb scope:SCOPE_SYS
	s_wait_storecnt 0x0
	global_store_b64 v[2:3], v[0:1], off scope:SCOPE_SYS
	s_and_b32 m0, s11, 0xffffff
	s_sendmsg sendmsg(MSG_INTERRUPT)
.LBB3_352:                              ;   in Loop: Header=BB3_280 Depth=1
	s_wait_xcnt 0x0
	s_or_b32 exec_lo, exec_lo, s1
	v_add_nc_u64_e32 v[0:1], v[6:7], v[30:31]
	s_branch .LBB3_356
.LBB3_353:                              ;   in Loop: Header=BB3_356 Depth=2
	s_wait_xcnt 0x0
	s_or_b32 exec_lo, exec_lo, s1
	s_delay_alu instid0(VALU_DEP_1)
	v_readfirstlane_b32 s1, v2
	s_cmp_eq_u32 s1, 0
	s_cbranch_scc1 .LBB3_355
; %bb.354:                              ;   in Loop: Header=BB3_356 Depth=2
	s_sleep 1
	s_cbranch_execnz .LBB3_356
	s_branch .LBB3_358
.LBB3_355:                              ;   in Loop: Header=BB3_280 Depth=1
	s_branch .LBB3_358
.LBB3_356:                              ;   Parent Loop BB3_280 Depth=1
                                        ; =>  This Inner Loop Header: Depth=2
	v_mov_b32_e32 v2, 1
	s_and_saveexec_b32 s1, s0
	s_cbranch_execz .LBB3_353
; %bb.357:                              ;   in Loop: Header=BB3_356 Depth=2
	global_load_b32 v2, v[34:35], off offset:20 scope:SCOPE_SYS
	s_wait_loadcnt 0x0
	global_inv scope:SCOPE_SYS
	v_and_b32_e32 v2, 1, v2
	s_branch .LBB3_353
.LBB3_358:                              ;   in Loop: Header=BB3_280 Depth=1
	global_load_b64 v[0:1], v[0:1], off
	s_wait_xcnt 0x0
	s_and_saveexec_b32 s11, s0
	s_cbranch_execz .LBB3_279
; %bb.359:                              ;   in Loop: Header=BB3_280 Depth=1
	s_clause 0x2
	global_load_b64 v[2:3], v31, s[2:3] offset:40
	global_load_b64 v[14:15], v31, s[2:3] offset:24 scope:SCOPE_SYS
	global_load_b64 v[6:7], v31, s[2:3]
	s_wait_loadcnt 0x2
	v_readfirstlane_b32 s12, v2
	v_readfirstlane_b32 s13, v3
	s_add_nc_u64 s[0:1], s[12:13], 1
	s_delay_alu instid0(SALU_CYCLE_1) | instskip(NEXT) | instid1(SALU_CYCLE_1)
	s_add_nc_u64 s[4:5], s[0:1], s[4:5]
	s_cmp_eq_u64 s[4:5], 0
	s_cselect_b32 s1, s1, s5
	s_cselect_b32 s0, s0, s4
	s_delay_alu instid0(SALU_CYCLE_1) | instskip(SKIP_1) | instid1(SALU_CYCLE_1)
	v_dual_mov_b32 v13, s1 :: v_dual_mov_b32 v12, s0
	s_and_b64 s[4:5], s[0:1], s[12:13]
	s_mul_u64 s[4:5], s[4:5], 24
	s_wait_loadcnt 0x0
	v_add_nc_u64_e32 v[2:3], s[4:5], v[6:7]
	global_store_b64 v[2:3], v[14:15], off
	global_wb scope:SCOPE_SYS
	s_wait_storecnt 0x0
	s_wait_xcnt 0x0
	global_atomic_cmpswap_b64 v[12:13], v31, v[12:15], s[2:3] offset:24 th:TH_ATOMIC_RETURN scope:SCOPE_SYS
	s_wait_loadcnt 0x0
	v_cmp_ne_u64_e32 vcc_lo, v[12:13], v[14:15]
	s_and_b32 exec_lo, exec_lo, vcc_lo
	s_cbranch_execz .LBB3_279
; %bb.360:                              ;   in Loop: Header=BB3_280 Depth=1
	s_mov_b32 s4, 0
.LBB3_361:                              ;   Parent Loop BB3_280 Depth=1
                                        ; =>  This Inner Loop Header: Depth=2
	v_dual_mov_b32 v10, s0 :: v_dual_mov_b32 v11, s1
	s_sleep 1
	global_store_b64 v[2:3], v[12:13], off
	global_wb scope:SCOPE_SYS
	s_wait_storecnt 0x0
	s_wait_xcnt 0x0
	global_atomic_cmpswap_b64 v[6:7], v31, v[10:13], s[2:3] offset:24 th:TH_ATOMIC_RETURN scope:SCOPE_SYS
	s_wait_loadcnt 0x0
	v_cmp_eq_u64_e32 vcc_lo, v[6:7], v[12:13]
	v_mov_b64_e32 v[12:13], v[6:7]
	s_or_b32 s4, vcc_lo, s4
	s_delay_alu instid0(SALU_CYCLE_1)
	s_and_not1_b32 exec_lo, exec_lo, s4
	s_cbranch_execnz .LBB3_361
	s_branch .LBB3_279
.LBB3_362:
	s_or_b32 exec_lo, exec_lo, s7
                                        ; implicit-def: $vgpr30
                                        ; implicit-def: $vgpr48
.LBB3_363:
	s_and_not1_saveexec_b32 s6, s6
	s_cbranch_execz .LBB3_391
; %bb.364:
	v_readfirstlane_b32 s0, v48
	v_mov_b64_e32 v[2:3], 0
	s_delay_alu instid0(VALU_DEP_2)
	v_cmp_eq_u32_e64 s0, s0, v48
	s_and_saveexec_b32 s1, s0
	s_cbranch_execz .LBB3_370
; %bb.365:
	v_mov_b32_e32 v4, 0
	s_mov_b32 s4, exec_lo
	global_load_b64 v[8:9], v4, s[2:3] offset:24 scope:SCOPE_SYS
	s_wait_loadcnt 0x0
	global_inv scope:SCOPE_SYS
	s_clause 0x1
	global_load_b64 v[2:3], v4, s[2:3] offset:40
	global_load_b64 v[6:7], v4, s[2:3]
	s_wait_loadcnt 0x1
	v_and_b32_e32 v2, v2, v8
	v_and_b32_e32 v3, v3, v9
	s_delay_alu instid0(VALU_DEP_1) | instskip(SKIP_1) | instid1(VALU_DEP_1)
	v_mul_u64_e32 v[2:3], 24, v[2:3]
	s_wait_loadcnt 0x0
	v_add_nc_u64_e32 v[2:3], v[6:7], v[2:3]
	global_load_b64 v[6:7], v[2:3], off scope:SCOPE_SYS
	s_wait_xcnt 0x0
	s_wait_loadcnt 0x0
	global_atomic_cmpswap_b64 v[2:3], v4, v[6:9], s[2:3] offset:24 th:TH_ATOMIC_RETURN scope:SCOPE_SYS
	s_wait_loadcnt 0x0
	global_inv scope:SCOPE_SYS
	s_wait_xcnt 0x0
	v_cmpx_ne_u64_e64 v[2:3], v[8:9]
	s_cbranch_execz .LBB3_369
; %bb.366:
	s_mov_b32 s5, 0
.LBB3_367:                              ; =>This Inner Loop Header: Depth=1
	s_sleep 1
	s_clause 0x1
	global_load_b64 v[6:7], v4, s[2:3] offset:40
	global_load_b64 v[10:11], v4, s[2:3]
	v_mov_b64_e32 v[8:9], v[2:3]
	s_wait_loadcnt 0x1
	s_delay_alu instid0(VALU_DEP_1) | instskip(NEXT) | instid1(VALU_DEP_2)
	v_and_b32_e32 v2, v6, v8
	v_and_b32_e32 v5, v7, v9
	s_wait_loadcnt 0x0
	s_delay_alu instid0(VALU_DEP_2) | instskip(NEXT) | instid1(VALU_DEP_1)
	v_mad_nc_u64_u32 v[2:3], v2, 24, v[10:11]
	v_mad_u32 v3, v5, 24, v3
	global_load_b64 v[6:7], v[2:3], off scope:SCOPE_SYS
	s_wait_xcnt 0x0
	s_wait_loadcnt 0x0
	global_atomic_cmpswap_b64 v[2:3], v4, v[6:9], s[2:3] offset:24 th:TH_ATOMIC_RETURN scope:SCOPE_SYS
	s_wait_loadcnt 0x0
	global_inv scope:SCOPE_SYS
	v_cmp_eq_u64_e32 vcc_lo, v[2:3], v[8:9]
	s_or_b32 s5, vcc_lo, s5
	s_wait_xcnt 0x0
	s_and_not1_b32 exec_lo, exec_lo, s5
	s_cbranch_execnz .LBB3_367
; %bb.368:
	s_or_b32 exec_lo, exec_lo, s5
.LBB3_369:
	s_delay_alu instid0(SALU_CYCLE_1)
	s_or_b32 exec_lo, exec_lo, s4
.LBB3_370:
	s_delay_alu instid0(SALU_CYCLE_1)
	s_or_b32 exec_lo, exec_lo, s1
	v_readfirstlane_b32 s4, v2
	v_mov_b32_e32 v31, 0
	v_readfirstlane_b32 s5, v3
	s_mov_b32 s1, exec_lo
	s_clause 0x1
	global_load_b64 v[8:9], v31, s[2:3] offset:40
	global_load_b128 v[4:7], v31, s[2:3]
	s_wait_loadcnt 0x1
	v_and_b32_e32 v2, s4, v8
	v_and_b32_e32 v3, s5, v9
	s_delay_alu instid0(VALU_DEP_1) | instskip(SKIP_1) | instid1(VALU_DEP_1)
	v_mul_u64_e32 v[8:9], 24, v[2:3]
	s_wait_loadcnt 0x0
	v_add_nc_u64_e32 v[8:9], v[4:5], v[8:9]
	s_wait_xcnt 0x0
	s_and_saveexec_b32 s7, s0
	s_cbranch_execz .LBB3_372
; %bb.371:
	v_mov_b64_e32 v[12:13], 0x100000002
	v_dual_mov_b32 v10, s1 :: v_dual_mov_b32 v11, v31
	global_store_b128 v[8:9], v[10:13], off offset:8
.LBB3_372:
	s_wait_xcnt 0x0
	s_or_b32 exec_lo, exec_lo, s7
	v_lshlrev_b64_e32 v[2:3], 12, v[2:3]
	s_mov_b32 s12, 0
	v_and_or_b32 v0, 0xffffff1f, v0, 32
	s_mov_b32 s13, s12
	s_mov_b32 s14, s12
	;; [unrolled: 1-line block ×3, first 2 shown]
	v_mov_b64_e32 v[10:11], s[12:13]
	v_add_nc_u64_e32 v[6:7], v[6:7], v[2:3]
	v_mov_b64_e32 v[12:13], s[14:15]
	v_dual_mov_b32 v2, v31 :: v_dual_mov_b32 v3, v31
	s_delay_alu instid0(VALU_DEP_3) | instskip(NEXT) | instid1(VALU_DEP_4)
	v_readfirstlane_b32 s10, v6
	v_readfirstlane_b32 s11, v7
	s_clause 0x3
	global_store_b128 v30, v[0:3], s[10:11]
	global_store_b128 v30, v[10:13], s[10:11] offset:16
	global_store_b128 v30, v[10:13], s[10:11] offset:32
	;; [unrolled: 1-line block ×3, first 2 shown]
	s_wait_xcnt 0x0
	s_and_saveexec_b32 s1, s0
	s_cbranch_execz .LBB3_380
; %bb.373:
	v_dual_mov_b32 v10, 0 :: v_dual_mov_b32 v13, s5
	s_mov_b32 s7, exec_lo
	s_clause 0x1
	global_load_b64 v[14:15], v10, s[2:3] offset:32 scope:SCOPE_SYS
	global_load_b64 v[0:1], v10, s[2:3] offset:40
	s_wait_loadcnt 0x0
	v_dual_mov_b32 v12, s4 :: v_dual_bitop2_b32 v1, s5, v1 bitop3:0x40
	v_and_b32_e32 v0, s4, v0
	s_delay_alu instid0(VALU_DEP_1) | instskip(NEXT) | instid1(VALU_DEP_1)
	v_mul_u64_e32 v[0:1], 24, v[0:1]
	v_add_nc_u64_e32 v[4:5], v[4:5], v[0:1]
	global_store_b64 v[4:5], v[14:15], off
	global_wb scope:SCOPE_SYS
	s_wait_storecnt 0x0
	s_wait_xcnt 0x0
	global_atomic_cmpswap_b64 v[2:3], v10, v[12:15], s[2:3] offset:32 th:TH_ATOMIC_RETURN scope:SCOPE_SYS
	s_wait_loadcnt 0x0
	v_cmpx_ne_u64_e64 v[2:3], v[14:15]
	s_cbranch_execz .LBB3_376
; %bb.374:
	s_mov_b32 s10, 0
.LBB3_375:                              ; =>This Inner Loop Header: Depth=1
	v_dual_mov_b32 v0, s4 :: v_dual_mov_b32 v1, s5
	s_sleep 1
	global_store_b64 v[4:5], v[2:3], off
	global_wb scope:SCOPE_SYS
	s_wait_storecnt 0x0
	s_wait_xcnt 0x0
	global_atomic_cmpswap_b64 v[0:1], v10, v[0:3], s[2:3] offset:32 th:TH_ATOMIC_RETURN scope:SCOPE_SYS
	s_wait_loadcnt 0x0
	v_cmp_eq_u64_e32 vcc_lo, v[0:1], v[2:3]
	v_mov_b64_e32 v[2:3], v[0:1]
	s_or_b32 s10, vcc_lo, s10
	s_delay_alu instid0(SALU_CYCLE_1)
	s_and_not1_b32 exec_lo, exec_lo, s10
	s_cbranch_execnz .LBB3_375
.LBB3_376:
	s_or_b32 exec_lo, exec_lo, s7
	v_mov_b32_e32 v3, 0
	s_mov_b32 s10, exec_lo
	s_mov_b32 s7, exec_lo
	v_mbcnt_lo_u32_b32 v2, s10, 0
	global_load_b64 v[0:1], v3, s[2:3] offset:16
	s_wait_xcnt 0x0
	v_cmpx_eq_u32_e32 0, v2
	s_cbranch_execz .LBB3_378
; %bb.377:
	s_bcnt1_i32_b32 s10, s10
	s_delay_alu instid0(SALU_CYCLE_1)
	v_mov_b32_e32 v2, s10
	global_wb scope:SCOPE_SYS
	s_wait_loadcnt 0x0
	s_wait_storecnt 0x0
	global_atomic_add_u64 v[0:1], v[2:3], off offset:8 scope:SCOPE_SYS
.LBB3_378:
	s_wait_xcnt 0x0
	s_or_b32 exec_lo, exec_lo, s7
	s_wait_loadcnt 0x0
	global_load_b64 v[2:3], v[0:1], off offset:16
	s_wait_loadcnt 0x0
	v_cmp_eq_u64_e32 vcc_lo, 0, v[2:3]
	s_cbranch_vccnz .LBB3_380
; %bb.379:
	global_load_b32 v0, v[0:1], off offset:24
	s_wait_xcnt 0x0
	v_mov_b32_e32 v1, 0
	s_wait_loadcnt 0x0
	v_readfirstlane_b32 s7, v0
	global_wb scope:SCOPE_SYS
	s_wait_storecnt 0x0
	global_store_b64 v[2:3], v[0:1], off scope:SCOPE_SYS
	s_and_b32 m0, s7, 0xffffff
	s_sendmsg sendmsg(MSG_INTERRUPT)
.LBB3_380:
	s_wait_xcnt 0x0
	s_or_b32 exec_lo, exec_lo, s1
	v_add_nc_u64_e32 v[0:1], v[6:7], v[30:31]
	s_branch .LBB3_384
.LBB3_381:                              ;   in Loop: Header=BB3_384 Depth=1
	s_wait_xcnt 0x0
	s_or_b32 exec_lo, exec_lo, s1
	s_delay_alu instid0(VALU_DEP_1)
	v_readfirstlane_b32 s1, v2
	s_cmp_eq_u32 s1, 0
	s_cbranch_scc1 .LBB3_383
; %bb.382:                              ;   in Loop: Header=BB3_384 Depth=1
	s_sleep 1
	s_cbranch_execnz .LBB3_384
	s_branch .LBB3_386
.LBB3_383:
	s_branch .LBB3_386
.LBB3_384:                              ; =>This Inner Loop Header: Depth=1
	v_mov_b32_e32 v2, 1
	s_and_saveexec_b32 s1, s0
	s_cbranch_execz .LBB3_381
; %bb.385:                              ;   in Loop: Header=BB3_384 Depth=1
	global_load_b32 v2, v[8:9], off offset:20 scope:SCOPE_SYS
	s_wait_loadcnt 0x0
	global_inv scope:SCOPE_SYS
	v_and_b32_e32 v2, 1, v2
	s_branch .LBB3_381
.LBB3_386:
	global_load_b64 v[0:1], v[0:1], off
	s_wait_xcnt 0x0
	s_and_saveexec_b32 s7, s0
	s_cbranch_execz .LBB3_390
; %bb.387:
	v_mov_b32_e32 v8, 0
	s_clause 0x2
	global_load_b64 v[2:3], v8, s[2:3] offset:40
	global_load_b64 v[12:13], v8, s[2:3] offset:24 scope:SCOPE_SYS
	global_load_b64 v[4:5], v8, s[2:3]
	s_wait_loadcnt 0x2
	v_readfirstlane_b32 s10, v2
	v_readfirstlane_b32 s11, v3
	s_add_nc_u64 s[0:1], s[10:11], 1
	s_delay_alu instid0(SALU_CYCLE_1) | instskip(NEXT) | instid1(SALU_CYCLE_1)
	s_add_nc_u64 s[4:5], s[0:1], s[4:5]
	s_cmp_eq_u64 s[4:5], 0
	s_cselect_b32 s1, s1, s5
	s_cselect_b32 s0, s0, s4
	v_mov_b32_e32 v11, s1
	s_and_b64 s[4:5], s[0:1], s[10:11]
	v_mov_b32_e32 v10, s0
	s_mul_u64 s[4:5], s[4:5], 24
	s_wait_loadcnt 0x0
	v_add_nc_u64_e32 v[6:7], s[4:5], v[4:5]
	global_store_b64 v[6:7], v[12:13], off
	global_wb scope:SCOPE_SYS
	s_wait_storecnt 0x0
	s_wait_xcnt 0x0
	global_atomic_cmpswap_b64 v[4:5], v8, v[10:13], s[2:3] offset:24 th:TH_ATOMIC_RETURN scope:SCOPE_SYS
	s_wait_loadcnt 0x0
	v_cmp_ne_u64_e32 vcc_lo, v[4:5], v[12:13]
	s_and_b32 exec_lo, exec_lo, vcc_lo
	s_cbranch_execz .LBB3_390
; %bb.388:
	s_mov_b32 s4, 0
.LBB3_389:                              ; =>This Inner Loop Header: Depth=1
	v_dual_mov_b32 v2, s0 :: v_dual_mov_b32 v3, s1
	s_sleep 1
	global_store_b64 v[6:7], v[4:5], off
	global_wb scope:SCOPE_SYS
	s_wait_storecnt 0x0
	s_wait_xcnt 0x0
	global_atomic_cmpswap_b64 v[2:3], v8, v[2:5], s[2:3] offset:24 th:TH_ATOMIC_RETURN scope:SCOPE_SYS
	s_wait_loadcnt 0x0
	v_cmp_eq_u64_e32 vcc_lo, v[2:3], v[4:5]
	v_mov_b64_e32 v[4:5], v[2:3]
	s_or_b32 s4, vcc_lo, s4
	s_delay_alu instid0(SALU_CYCLE_1)
	s_and_not1_b32 exec_lo, exec_lo, s4
	s_cbranch_execnz .LBB3_389
.LBB3_390:
	s_or_b32 exec_lo, exec_lo, s7
.LBB3_391:
	s_delay_alu instid0(SALU_CYCLE_1)
	s_or_b32 exec_lo, exec_lo, s6
	s_get_pc_i64 s[0:1]
	s_add_nc_u64 s[0:1], s[0:1], .str.4@rel64+4
	s_get_pc_i64 s[2:3]
	s_add_nc_u64 s[2:3], s[2:3], .str.4@rel64+32
	v_dual_mov_b32 v2, s0 :: v_dual_mov_b32 v3, s1
	s_sub_co_i32 s4, s2, s0
	v_mov_b32_e32 v6, 1
	s_ashr_i32 s5, s4, 31
	s_delay_alu instid0(SALU_CYCLE_1) | instskip(SKIP_2) | instid1(SALU_CYCLE_1)
	v_dual_mov_b32 v4, s4 :: v_dual_mov_b32 v5, s5
	s_get_pc_i64 s[2:3]
	s_add_nc_u64 s[2:3], s[2:3], __ockl_fprintf_append_string_n@rel64+4
	s_swap_pc_i64 s[30:31], s[2:3]
	s_trap 2
.Lfunc_end3:
	.size	__assert_fail, .Lfunc_end3-__assert_fail
                                        ; -- End function
	.set .L__assert_fail.num_vgpr, max(49, .L__ockl_fprintf_append_string_n.num_vgpr)
	.set .L__assert_fail.num_agpr, max(0, .L__ockl_fprintf_append_string_n.num_agpr)
	.set .L__assert_fail.numbered_sgpr, max(34, .L__ockl_fprintf_append_string_n.numbered_sgpr)
	.set .L__assert_fail.num_named_barrier, max(0, .L__ockl_fprintf_append_string_n.num_named_barrier)
	.set .L__assert_fail.private_seg_size, 64+max(.L__ockl_fprintf_append_string_n.private_seg_size)
	.set .L__assert_fail.uses_vcc, or(1, .L__ockl_fprintf_append_string_n.uses_vcc)
	.set .L__assert_fail.uses_flat_scratch, or(1, .L__ockl_fprintf_append_string_n.uses_flat_scratch)
	.set .L__assert_fail.has_dyn_sized_stack, or(0, .L__ockl_fprintf_append_string_n.has_dyn_sized_stack)
	.set .L__assert_fail.has_recursion, or(0, .L__ockl_fprintf_append_string_n.has_recursion)
	.set .L__assert_fail.has_indirect_call, or(0, .L__ockl_fprintf_append_string_n.has_indirect_call)
	.section	.AMDGPU.csdata,"",@progbits
; Function info:
; codeLenInByte = 15740
; TotalNumSgprs: 36
; NumVgprs: 49
; ScratchSize: 64
; MemoryBound: 0
	.text
	.p2align	2                               ; -- Begin function _ZN12_GLOBAL__N_17runRingIa7FuncSumIaE11ProtoSimpleILi1ELi1ELi0ELi1ELi0ELi0EELi0ELi1ELi0EEEviiP15ncclDevWorkColl
	.type	_ZN12_GLOBAL__N_17runRingIa7FuncSumIaE11ProtoSimpleILi1ELi1ELi0ELi1ELi0ELi0EELi0ELi1ELi0EEEviiP15ncclDevWorkColl,@function
_ZN12_GLOBAL__N_17runRingIa7FuncSumIaE11ProtoSimpleILi1ELi1ELi0ELi1ELi0ELi0EELi0ELi1ELi0EEEviiP15ncclDevWorkColl: ; @_ZN12_GLOBAL__N_17runRingIa7FuncSumIaE11ProtoSimpleILi1ELi1ELi0ELi1ELi0ELi0EELi0ELi1ELi0EEEviiP15ncclDevWorkColl
; %bb.0:
	s_wait_loadcnt_dscnt 0x0
	s_wait_kmcnt 0x0
	s_mov_b32 s60, s33
	s_mov_b32 s33, s32
	s_or_saveexec_b32 s0, -1
	scratch_store_b32 off, v62, s33 offset:56 ; 4-byte Folded Spill
	s_wait_xcnt 0x0
	s_mov_b32 exec_lo, s0
	s_add_co_i32 s32, s32, 64
	s_clause 0xd
	scratch_store_b32 off, v40, s33 offset:52
	; meta instruction
	scratch_store_b32 off, v41, s33 offset:48
	; meta instruction
	;; [unrolled: 2-line block ×13, first 2 shown]
	scratch_store_b32 off, v61, s33
	v_writelane_b32 v62, s30, 0
	v_writelane_b32 v62, s31, 1
	s_trap 2
	ds_load_b64 v[4:5], v0
	s_clause 0x1
	flat_load_b64 v[16:17], v[2:3]
	flat_load_u16 v9, v[2:3] offset:8
	ds_load_b32 v6, v0
	s_mov_b32 s0, exec_lo
                                        ; implicit-def: $vgpr34_vgpr35
                                        ; implicit-def: $vgpr14_vgpr15
	s_wait_dscnt 0x3
	flat_load_b64 v[36:37], v[4:5]
                                        ; implicit-def: $vgpr4_vgpr5
	s_wait_loadcnt_dscnt 0x203
	v_and_b32_e32 v7, 0xff, v16
	v_mov_b32_e32 v8, v17
	s_wait_dscnt 0x1
	s_wait_xcnt 0x0
	s_delay_alu instid0(VALU_DEP_2)
	v_cmpx_ne_u32_e64 v6, v7
	s_xor_b32 s0, exec_lo, s0
	s_cbranch_execz .LBB4_6
; %bb.1:
	v_bfe_u32 v11, v16, 8, 8
	v_not_b32_e32 v10, v7
	s_mov_b32 s1, exec_lo
                                        ; implicit-def: $vgpr34_vgpr35
                                        ; implicit-def: $vgpr4_vgpr5
                                        ; implicit-def: $vgpr14_vgpr15
	s_delay_alu instid0(VALU_DEP_2)
	v_cmpx_ne_u32_e64 v6, v11
	s_xor_b32 s1, exec_lo, s1
	s_cbranch_execz .LBB4_3
; %bb.2:
	s_clause 0x1
	flat_load_b128 v[18:21], v[2:3] offset:72
	flat_load_b64 v[4:5], v[2:3] offset:96
	v_add_nc_u32_e32 v6, v6, v10
                                        ; implicit-def: $vgpr11
                                        ; implicit-def: $vgpr10
	s_wait_loadcnt_dscnt 0x101
	s_delay_alu instid0(VALU_DEP_1) | instskip(SKIP_3) | instid1(VALU_DEP_3)
	v_mad_nc_u64_u32 v[14:15], v20, v6, v[18:19]
	s_wait_loadcnt_dscnt 0x0
	v_lshrrev_b64 v[34:35], 21, v[4:5]
	v_mov_b64_e32 v[4:5], v[20:21]
	v_mad_u32 v7, v21, v6, v15
	v_ashrrev_i32_e32 v6, 31, v6
	s_delay_alu instid0(VALU_DEP_1)
	v_mad_u32 v15, v20, v6, v7
.LBB4_3:
	s_wait_xcnt 0x0
	s_and_not1_saveexec_b32 s1, s1
	s_cbranch_execz .LBB4_5
; %bb.4:
	s_clause 0x1
	flat_load_b128 v[18:21], v[2:3] offset:72
	flat_load_b128 v[4:7], v[2:3] offset:88
	s_wait_loadcnt_dscnt 0x0
	v_dual_add_nc_u32 v6, v11, v10 :: v_dual_lshrrev_b32 v34, 10, v7
	s_delay_alu instid0(VALU_DEP_1) | instskip(NEXT) | instid1(VALU_DEP_1)
	v_mad_nc_u64_u32 v[14:15], v20, v6, v[18:19]
	v_mad_u32 v10, v21, v6, v15
	v_ashrrev_i32_e32 v6, 31, v6
	s_delay_alu instid0(VALU_DEP_1)
	v_mad_u32 v15, v20, v6, v10
.LBB4_5:
	s_wait_xcnt 0x0
	s_or_b32 exec_lo, exec_lo, s1
.LBB4_6:
	s_and_not1_saveexec_b32 s0, s0
	s_cbranch_execz .LBB4_8
; %bb.7:
	s_clause 0x1
	flat_load_b64 v[4:5], v[2:3] offset:72
	flat_load_b64 v[34:35], v[2:3] offset:96
	v_mov_b64_e32 v[14:15], 0
.LBB4_8:
	s_wait_xcnt 0x0
	s_or_b32 exec_lo, exec_lo, s0
	flat_load_b128 v[10:13], v[2:3] offset:16
	v_and_b32_e32 v6, 0x44000000, v16
	v_bfe_u32 v23, v8, 1, 30
	s_mov_b32 s0, exec_lo
	s_delay_alu instid0(VALU_DEP_2) | instskip(NEXT) | instid1(VALU_DEP_1)
	v_cmp_eq_u32_e64 s7, 0x44000000, v6
	v_cndmask_b32_e64 v30, v1, 32, s7
	s_wait_xcnt 0x0
	s_delay_alu instid0(VALU_DEP_1)
	v_cmpx_ge_i32_e64 v0, v30
	s_xor_b32 s1, exec_lo, s0
	s_cbranch_execz .LBB4_38
; %bb.9:
	s_wait_loadcnt_dscnt 0x0
	v_cmp_ne_u64_e32 vcc_lo, v[12:13], v[10:11]
	v_cmp_eq_u32_e64 s0, v36, v23
	s_and_b32 s2, vcc_lo, s0
	s_delay_alu instid0(SALU_CYCLE_1)
	s_and_saveexec_b32 s0, s2
	s_cbranch_execz .LBB4_37
; %bb.10:
	v_sub_nc_u32_e32 v27, v0, v30
	s_mov_b32 s3, 0
	s_mov_b32 s2, exec_lo
	s_delay_alu instid0(VALU_DEP_1) | instskip(NEXT) | instid1(VALU_DEP_1)
	v_ashrrev_i16 v0, 15, v27
	v_lshrrev_b16 v0, 11, v0
	s_delay_alu instid0(VALU_DEP_1) | instskip(NEXT) | instid1(VALU_DEP_1)
	v_add_nc_u16 v0, v27, v0
	v_and_b32_e32 v2, 0xffffffe0, v0
	s_delay_alu instid0(VALU_DEP_1) | instskip(NEXT) | instid1(VALU_DEP_1)
	v_sub_nc_u16 v8, v27, v2
	v_cmpx_gt_i16_e32 1, v8
; %bb.11:
	v_dual_add_nc_u32 v2, v12, v14 :: v_dual_add_nc_u32 v3, v10, v14
	s_delay_alu instid0(VALU_DEP_1) | instskip(NEXT) | instid1(VALU_DEP_1)
	v_bitop3_b32 v2, v2, 15, v3 bitop3:0xc8
	v_cmp_ne_u32_e32 vcc_lo, 0, v2
	s_and_b32 s3, vcc_lo, exec_lo
; %bb.12:
	s_or_b32 exec_lo, exec_lo, s2
	v_cndmask_b32_e64 v2, 0, 1, s3
	v_sub_nc_u32_e32 v26, v1, v30
	s_delay_alu instid0(VALU_DEP_2)
	v_cmp_ne_u32_e32 vcc_lo, 0, v2
	s_cbranch_vccz .LBB4_14
; %bb.13:
	v_mov_b64_e32 v[0:1], 0
	s_mov_b32 s3, -1
	s_delay_alu instid0(SALU_CYCLE_1)
	s_and_b32 exec_lo, exec_lo, s3
	s_cbranch_execnz .LBB4_29
	s_branch .LBB4_37
.LBB4_14:
	v_dual_ashrrev_i32 v1, 31, v5 :: v_dual_mov_b32 v3, 0
	v_ashrrev_i16 v6, 5, v0
	v_bfe_i32 v22, v8, 0, 16
	s_mov_b32 s3, 0
	s_delay_alu instid0(VALU_DEP_3) | instskip(SKIP_1) | instid1(VALU_DEP_1)
	v_lshrrev_b32_e32 v2, 22, v1
	s_mov_b32 s2, exec_lo
	v_add_nc_u64_e32 v[0:1], v[4:5], v[2:3]
	v_bfe_i32 v2, v6, 0, 16
	s_delay_alu instid0(VALU_DEP_1) | instskip(NEXT) | instid1(VALU_DEP_3)
	v_ashrrev_i32_e32 v3, 31, v2
	v_ashrrev_i64 v[0:1], 10, v[0:1]
	s_delay_alu instid0(VALU_DEP_1) | instskip(NEXT) | instid1(VALU_DEP_1)
	v_sub_nc_u64_e32 v[6:7], v[0:1], v[2:3]
	v_cmpx_lt_i64_e32 0, v[6:7]
	s_cbranch_execz .LBB4_18
; %bb.15:
	v_ashrrev_i16 v3, 15, v26
	v_lshlrev_b32_e32 v8, 4, v22
	s_delay_alu instid0(VALU_DEP_2) | instskip(NEXT) | instid1(VALU_DEP_2)
	v_lshrrev_b16 v3, 11, v3
	v_lshl_add_u32 v16, v2, 10, v8
	s_delay_alu instid0(VALU_DEP_2) | instskip(NEXT) | instid1(VALU_DEP_2)
	v_add_nc_u16 v3, v26, v3
	v_ashrrev_i32_e32 v17, 31, v16
	s_delay_alu instid0(VALU_DEP_2) | instskip(NEXT) | instid1(VALU_DEP_2)
	v_ashrrev_i16 v3, 5, v3
	v_add_nc_u64_e32 v[16:17], v[14:15], v[16:17]
	s_delay_alu instid0(VALU_DEP_2) | instskip(NEXT) | instid1(VALU_DEP_1)
	v_bfe_i32 v2, v3, 0, 16
	v_dual_lshlrev_b32 v8, 10, v2 :: v_dual_ashrrev_i32 v3, 31, v2
	s_delay_alu instid0(VALU_DEP_1)
	v_ashrrev_i32_e32 v9, 31, v8
.LBB4_16:                               ; =>This Inner Loop Header: Depth=1
	s_delay_alu instid0(VALU_DEP_4) | instskip(NEXT) | instid1(VALU_DEP_3)
	v_add_nc_u64_e32 v[24:25], v[12:13], v[16:17]
	v_sub_nc_u64_e32 v[6:7], v[6:7], v[2:3]
	s_clause 0x1
	global_load_b128 v[18:21], v[24:25], off th:TH_LOAD_NT
	global_load_b128 v[28:31], v[24:25], off offset:512 th:TH_LOAD_NT
	v_cmp_gt_i64_e32 vcc_lo, 1, v[6:7]
	s_wait_xcnt 0x0
	v_add_nc_u64_e32 v[24:25], v[10:11], v[16:17]
	v_add_nc_u64_e32 v[16:17], v[16:17], v[8:9]
	s_wait_loadcnt 0x1
	global_store_b128 v[24:25], v[18:21], off th:TH_STORE_NT
	s_wait_loadcnt 0x0
	global_store_b128 v[24:25], v[28:31], off offset:512 th:TH_STORE_NT
	s_or_b32 s3, vcc_lo, s3
	s_wait_xcnt 0x0
	s_and_not1_b32 exec_lo, exec_lo, s3
	s_cbranch_execnz .LBB4_16
; %bb.17:
	s_or_b32 exec_lo, exec_lo, s3
.LBB4_18:
	s_delay_alu instid0(SALU_CYCLE_1) | instskip(SKIP_4) | instid1(VALU_DEP_2)
	s_or_b32 exec_lo, exec_lo, s2
	v_lshlrev_b64_e32 v[8:9], 10, v[0:1]
	v_mov_b64_e32 v[0:1], 0
	s_mov_b32 s3, 0
	s_mov_b32 s2, exec_lo
                                        ; implicit-def: $vgpr2_vgpr3
                                        ; implicit-def: $vgpr27
	v_cmpx_ne_u64_e64 v[4:5], v[8:9]
	s_cbranch_execz .LBB4_28
; %bb.19:
	v_sub_nc_u64_e32 v[16:17], v[4:5], v[8:9]
	s_mov_b32 s3, exec_lo
	s_delay_alu instid0(VALU_DEP_1) | instskip(NEXT) | instid1(VALU_DEP_1)
	v_dual_mov_b32 v21, 0 :: v_dual_ashrrev_i32 v0, 31, v17
	v_lshrrev_b32_e32 v20, 23, v0
	s_delay_alu instid0(VALU_DEP_1) | instskip(NEXT) | instid1(VALU_DEP_1)
	v_add_nc_u64_e32 v[0:1], v[16:17], v[20:21]
	v_ashrrev_i64 v[18:19], 9, v[0:1]
	v_and_b32_e32 v0, 0xfffffe00, v0
	s_delay_alu instid0(VALU_DEP_1) | instskip(SKIP_1) | instid1(VALU_DEP_2)
	v_sub_nc_u64_e32 v[2:3], v[16:17], v[0:1]
	v_add_nc_u64_e32 v[0:1], v[0:1], v[8:9]
	v_cmpx_lt_i64_e32 15, v[2:3]
; %bb.20:
	v_and_b32_e32 v20, 15, v4
	v_add_nc_u64_e32 v[18:19], 1, v[18:19]
	s_delay_alu instid0(VALU_DEP_2) | instskip(NEXT) | instid1(VALU_DEP_1)
	v_sub_nc_u64_e32 v[2:3], v[2:3], v[20:21]
	v_add_nc_u64_e32 v[0:1], v[2:3], v[0:1]
	v_mov_b64_e32 v[2:3], v[20:21]
; %bb.21:
	s_or_b32 exec_lo, exec_lo, s3
	v_lshlrev_b32_e32 v4, 5, v6
	s_mov_b32 s3, exec_lo
	s_delay_alu instid0(VALU_DEP_1) | instskip(NEXT) | instid1(VALU_DEP_1)
	v_sub_nc_u32_e32 v4, v22, v4
	v_ashrrev_i32_e32 v5, 31, v4
	s_delay_alu instid0(VALU_DEP_1) | instskip(NEXT) | instid1(VALU_DEP_1)
	v_lshrrev_b32_e32 v5, 27, v5
	v_add_nc_u32_e32 v5, v4, v5
	s_delay_alu instid0(VALU_DEP_1) | instskip(NEXT) | instid1(VALU_DEP_1)
	v_and_b32_e32 v6, 0xffffffe0, v5
	v_dual_sub_nc_u32 v22, v4, v6 :: v_dual_ashrrev_i32 v4, 5, v5
	s_delay_alu instid0(VALU_DEP_1) | instskip(NEXT) | instid1(VALU_DEP_1)
	v_lshlrev_b32_e32 v5, 4, v22
	v_lshl_add_u32 v20, v4, 9, v5
	v_ashrrev_i32_e32 v5, 31, v4
	s_delay_alu instid0(VALU_DEP_2) | instskip(NEXT) | instid1(VALU_DEP_2)
	v_ashrrev_i32_e32 v21, 31, v20
	v_sub_nc_u64_e32 v[4:5], v[18:19], v[4:5]
	s_delay_alu instid0(VALU_DEP_2) | instskip(NEXT) | instid1(VALU_DEP_1)
	v_sub_nc_u64_e32 v[6:7], v[16:17], v[20:21]
	v_cmpx_lt_i64_e32 15, v[6:7]
	s_cbranch_execz .LBB4_25
; %bb.22:
	v_ashrrev_i16 v16, 15, v26
	v_add_nc_u64_e32 v[18:19], v[14:15], v[8:9]
	s_mov_b32 s4, 0
	s_delay_alu instid0(VALU_DEP_2) | instskip(NEXT) | instid1(VALU_DEP_2)
	v_lshrrev_b16 v16, 11, v16
	v_add_nc_u64_e32 v[18:19], v[18:19], v[20:21]
	s_delay_alu instid0(VALU_DEP_2) | instskip(NEXT) | instid1(VALU_DEP_1)
	v_add_nc_u16 v16, v26, v16
	v_ashrrev_i16 v16, 5, v16
	s_delay_alu instid0(VALU_DEP_1) | instskip(NEXT) | instid1(VALU_DEP_1)
	v_bfe_i32 v16, v16, 0, 16
	v_dual_lshlrev_b32 v8, 9, v16 :: v_dual_ashrrev_i32 v17, 31, v16
	s_delay_alu instid0(VALU_DEP_1)
	v_ashrrev_i32_e32 v9, 31, v8
.LBB4_23:                               ; =>This Inner Loop Header: Depth=1
	v_add_nc_u64_e32 v[20:21], v[12:13], v[18:19]
	s_delay_alu instid0(VALU_DEP_2) | instskip(NEXT) | instid1(VALU_DEP_4)
	v_sub_nc_u64_e32 v[6:7], v[6:7], v[8:9]
	v_sub_nc_u64_e32 v[4:5], v[4:5], v[16:17]
	global_load_b128 v[28:31], v[20:21], off th:TH_LOAD_NT
	v_cmp_gt_i64_e32 vcc_lo, 16, v[6:7]
	s_wait_xcnt 0x0
	v_add_nc_u64_e32 v[20:21], v[10:11], v[18:19]
	v_add_nc_u64_e32 v[18:19], v[18:19], v[8:9]
	s_or_b32 s4, vcc_lo, s4
	s_wait_loadcnt 0x0
	global_store_b128 v[20:21], v[28:31], off th:TH_STORE_NT
	s_wait_xcnt 0x0
	s_and_not1_b32 exec_lo, exec_lo, s4
	s_cbranch_execnz .LBB4_23
; %bb.24:
	s_or_b32 exec_lo, exec_lo, s4
.LBB4_25:
	s_delay_alu instid0(SALU_CYCLE_1) | instskip(NEXT) | instid1(SALU_CYCLE_1)
	s_or_b32 exec_lo, exec_lo, s3
	s_mov_b32 s3, exec_lo
	s_delay_alu instid0(VALU_DEP_3)
	v_cmpx_lt_i64_e32 0, v[4:5]
	s_cbranch_execz .LBB4_27
; %bb.26:
	v_ashrrev_i16 v6, 15, v26
	s_delay_alu instid0(VALU_DEP_1) | instskip(NEXT) | instid1(VALU_DEP_1)
	v_lshrrev_b16 v6, 11, v6
	v_add_nc_u16 v6, v26, v6
	s_delay_alu instid0(VALU_DEP_1) | instskip(NEXT) | instid1(VALU_DEP_1)
	v_ashrrev_i16 v6, 5, v6
	v_bfe_i32 v6, v6, 0, 16
	s_delay_alu instid0(VALU_DEP_1) | instskip(NEXT) | instid1(VALU_DEP_1)
	v_ashrrev_i32_e32 v7, 31, v6
	v_sub_nc_u64_e32 v[4:5], v[4:5], v[6:7]
.LBB4_27:
	s_or_b32 exec_lo, exec_lo, s3
	s_delay_alu instid0(VALU_DEP_1) | instskip(SKIP_1) | instid1(VALU_DEP_2)
	v_lshlrev_b32_e32 v4, 5, v4
	v_cmp_ne_u64_e32 vcc_lo, 0, v[2:3]
	v_sub_nc_u32_e32 v27, v22, v4
	s_and_b32 s3, vcc_lo, exec_lo
.LBB4_28:
	s_or_b32 exec_lo, exec_lo, s2
	v_mov_b64_e32 v[4:5], v[2:3]
	s_and_b32 exec_lo, exec_lo, s3
	s_cbranch_execz .LBB4_37
.LBB4_29:
	s_delay_alu instid0(VALU_DEP_1) | instskip(SKIP_1) | instid1(VALU_DEP_1)
	v_dual_ashrrev_i32 v2, 31, v27 :: v_dual_ashrrev_i32 v3, 31, v5
	s_mov_b32 s2, exec_lo
	v_dual_lshrrev_b32 v6, 27, v2 :: v_dual_lshrrev_b32 v2, 24, v3
	s_delay_alu instid0(VALU_DEP_1) | instskip(NEXT) | instid1(VALU_DEP_1)
	v_dual_mov_b32 v3, 0 :: v_dual_add_nc_u32 v16, v27, v6
	v_add_nc_u64_e32 v[6:7], v[4:5], v[2:3]
	s_delay_alu instid0(VALU_DEP_2) | instskip(NEXT) | instid1(VALU_DEP_2)
	v_ashrrev_i32_e32 v2, 5, v16
	v_ashrrev_i64 v[8:9], 8, v[6:7]
	s_delay_alu instid0(VALU_DEP_2) | instskip(NEXT) | instid1(VALU_DEP_1)
	v_ashrrev_i32_e32 v3, 31, v2
	v_sub_nc_u64_e32 v[6:7], v[8:9], v[2:3]
	s_delay_alu instid0(VALU_DEP_1)
	v_cmpx_lt_i64_e32 0, v[6:7]
	s_cbranch_execz .LBB4_33
; %bb.30:
	v_ashrrev_i16 v3, 15, v26
	v_and_b32_e32 v16, 0xffffffe0, v16
	v_add_nc_u64_e32 v[24:25], v[14:15], v[0:1]
	s_mov_b32 s3, 0
	s_delay_alu instid0(VALU_DEP_3) | instskip(NEXT) | instid1(VALU_DEP_3)
	v_lshrrev_b16 v3, 11, v3
	v_sub_nc_u32_e32 v17, v27, v16
	s_delay_alu instid0(VALU_DEP_3) | instskip(NEXT) | instid1(VALU_DEP_3)
	v_add_nc_u64_e32 v[22:23], v[24:25], v[12:13]
	v_add_nc_u16 v3, v26, v3
	v_add_nc_u64_e32 v[24:25], v[24:25], v[10:11]
	s_delay_alu instid0(VALU_DEP_2) | instskip(NEXT) | instid1(VALU_DEP_1)
	v_ashrrev_i16 v3, 5, v3
	v_bfe_i32 v16, v3, 0, 16
	s_delay_alu instid0(VALU_DEP_1) | instskip(SKIP_2) | instid1(VALU_DEP_2)
	v_lshlrev_b32_e32 v20, 8, v16
	v_lshl_add_u32 v18, v2, 8, v17
	v_ashrrev_i32_e32 v17, 31, v16
	v_dual_ashrrev_i32 v21, 31, v20 :: v_dual_ashrrev_i32 v19, 31, v18
.LBB4_31:                               ; =>This Inner Loop Header: Depth=1
	s_delay_alu instid0(VALU_DEP_1) | instskip(NEXT) | instid1(VALU_DEP_3)
	v_add_nc_u64_e32 v[28:29], v[18:19], v[22:23]
	v_sub_nc_u64_e32 v[6:7], v[6:7], v[16:17]
	s_delay_alu instid0(VALU_DEP_3)
	v_add_nc_u64_e32 v[22:23], v[22:23], v[20:21]
	s_clause 0x7
	flat_load_u8 v3, v[28:29] th:TH_LOAD_NT
	flat_load_u8 v30, v[28:29] offset:32 th:TH_LOAD_NT
	flat_load_u8 v31, v[28:29] offset:64 th:TH_LOAD_NT
	;; [unrolled: 1-line block ×7, first 2 shown]
	v_cmp_gt_i64_e32 vcc_lo, 1, v[6:7]
	s_wait_xcnt 0x0
	v_add_nc_u64_e32 v[28:29], v[18:19], v[24:25]
	v_add_nc_u64_e32 v[24:25], v[24:25], v[20:21]
	s_wait_loadcnt_dscnt 0x707
	flat_store_b8 v[28:29], v3 th:TH_STORE_NT
	s_wait_loadcnt_dscnt 0x607
	flat_store_b8 v[28:29], v30 offset:32 th:TH_STORE_NT
	s_wait_loadcnt_dscnt 0x507
	flat_store_b8 v[28:29], v31 offset:64 th:TH_STORE_NT
	;; [unrolled: 2-line block ×7, first 2 shown]
	s_or_b32 s3, vcc_lo, s3
	s_wait_xcnt 0x0
	s_and_not1_b32 exec_lo, exec_lo, s3
	s_cbranch_execnz .LBB4_31
; %bb.32:
	s_or_b32 exec_lo, exec_lo, s3
.LBB4_33:
	s_delay_alu instid0(SALU_CYCLE_1) | instskip(SKIP_1) | instid1(VALU_DEP_1)
	s_or_b32 exec_lo, exec_lo, s2
	v_lshlrev_b64_e32 v[8:9], 8, v[8:9]
	v_cmp_ne_u64_e32 vcc_lo, v[4:5], v[8:9]
	s_and_b32 exec_lo, exec_lo, vcc_lo
	s_cbranch_execz .LBB4_37
; %bb.34:
	v_lshlrev_b32_e32 v2, 5, v2
	v_lshlrev_b32_e32 v3, 5, v6
	s_delay_alu instid0(VALU_DEP_2) | instskip(NEXT) | instid1(VALU_DEP_1)
	v_sub_nc_u32_e32 v2, v27, v2
	v_sub_nc_u32_e32 v6, v2, v3
	s_delay_alu instid0(VALU_DEP_1) | instskip(NEXT) | instid1(VALU_DEP_1)
	v_ashrrev_i32_e32 v7, 31, v6
	v_add_nc_u64_e32 v[2:3], v[8:9], v[6:7]
	s_delay_alu instid0(VALU_DEP_1) | instskip(NEXT) | instid1(VALU_DEP_1)
	v_sub_nc_u64_e32 v[2:3], v[4:5], v[2:3]
	v_cmp_lt_i64_e32 vcc_lo, 0, v[2:3]
	s_and_b32 exec_lo, exec_lo, vcc_lo
	s_cbranch_execz .LBB4_37
; %bb.35:
	v_ashrrev_i16 v4, 15, v26
	v_add_nc_u64_e32 v[0:1], v[14:15], v[0:1]
	s_mov_b32 s2, 0
	s_delay_alu instid0(VALU_DEP_2) | instskip(NEXT) | instid1(VALU_DEP_1)
	v_lshrrev_b16 v4, 11, v4
	v_add_nc_u16 v4, v26, v4
	s_delay_alu instid0(VALU_DEP_1) | instskip(NEXT) | instid1(VALU_DEP_1)
	v_ashrrev_i16 v4, 5, v4
	v_bfe_i32 v14, v4, 0, 16
	v_add_nc_u64_e32 v[4:5], v[0:1], v[8:9]
	s_delay_alu instid0(VALU_DEP_2) | instskip(NEXT) | instid1(VALU_DEP_2)
	v_lshlrev_b32_e32 v0, 5, v14
	v_add_nc_u64_e32 v[4:5], v[4:5], v[6:7]
	s_delay_alu instid0(VALU_DEP_2)
	v_ashrrev_i32_e32 v1, 31, v0
.LBB4_36:                               ; =>This Inner Loop Header: Depth=1
	s_delay_alu instid0(VALU_DEP_2) | instskip(NEXT) | instid1(VALU_DEP_2)
	v_add_nc_u64_e32 v[6:7], v[12:13], v[4:5]
	v_sub_nc_u64_e32 v[2:3], v[2:3], v[0:1]
	flat_load_u8 v8, v[6:7] th:TH_LOAD_NT
	v_cmp_gt_i64_e32 vcc_lo, 1, v[2:3]
	s_wait_xcnt 0x0
	v_add_nc_u64_e32 v[6:7], v[10:11], v[4:5]
	v_add_nc_u64_e32 v[4:5], v[4:5], v[0:1]
	s_or_b32 s2, vcc_lo, s2
	s_wait_loadcnt_dscnt 0x0
	flat_store_b8 v[6:7], v8 th:TH_STORE_NT
	s_wait_xcnt 0x0
	s_and_not1_b32 exec_lo, exec_lo, s2
	s_cbranch_execnz .LBB4_36
.LBB4_37:
	s_or_b32 exec_lo, exec_lo, s0
                                        ; implicit-def: $vgpr36_vgpr37
                                        ; implicit-def: $vgpr14_vgpr15
                                        ; implicit-def: $vgpr4_vgpr5
                                        ; implicit-def: $vgpr34_vgpr35
                                        ; implicit-def: $vgpr23
                                        ; implicit-def: $vgpr30
                                        ; implicit-def: $vgpr0
                                        ; implicit-def: $vgpr31
                                        ; implicit-def: $vgpr12_vgpr13
                                        ; implicit-def: $vgpr8_vgpr9
                                        ; implicit-def: $vgpr2_vgpr3
.LBB4_38:
	s_and_not1_saveexec_b32 s22, s1
	s_cbranch_execz .LBB4_1041
; %bb.39:
	s_trap 2
	ds_load_b64 v[6:7], v0
	s_mov_b32 s1, 0
	s_mov_b32 s2, exec_lo
	s_wait_dscnt 0x0
	v_cmp_ne_u32_e32 vcc_lo, -1, v6
	v_cndmask_b32_e64 v83, 0, 1, vcc_lo
	v_cmp_ne_u32_e32 vcc_lo, -1, v7
	s_delay_alu instid0(VALU_DEP_2) | instskip(NEXT) | instid1(VALU_DEP_1)
	v_add_co_ci_u32_e64 v6, null, 0, v83, vcc_lo
	v_lshlrev_b32_e32 v1, 1, v6
	s_delay_alu instid0(VALU_DEP_1)
	v_cmpx_le_u32_e64 v1, v30
	s_xor_b32 s23, exec_lo, s2
	s_cbranch_execz .LBB4_1038
; %bb.40:
	flat_load_b64 v[26:27], v[2:3] offset:104
	s_trap 2
	s_load_b32 s0, s[8:9], 0x0
	s_bfe_u32 s2, ttmp6, 0x4000c
	s_and_b32 s3, ttmp6, 15
	s_add_co_i32 s2, s2, 1
	s_getreg_b32 s4, hwreg(HW_REG_IB_STS2, 6, 4)
	s_mul_i32 s2, ttmp9, s2
	v_dual_mov_b32 v1, 0 :: v_dual_mov_b32 v114, 4
	s_add_co_i32 s3, s3, s2
	s_cmp_eq_u32 s4, 0
	ds_load_b32 v7, v0
	s_cselect_b32 s2, ttmp9, s3
	s_wait_kmcnt 0x0
	s_cmp_lt_u32 s2, s0
	s_cselect_b32 s0, 12, 18
	s_delay_alu instid0(SALU_CYCLE_1)
	s_add_nc_u64 s[0:1], s[8:9], s[0:1]
	global_load_u16 v1, v1, s[0:1]
	s_wait_xcnt 0x0
	s_mov_b32 s1, exec_lo
	s_wait_dscnt 0x0
	v_readfirstlane_b32 s10, v7
	v_cmpx_ge_i32_e64 v0, v83
	s_cbranch_execz .LBB4_50
; %bb.41:
	v_cmp_ge_u32_e64 s0, v0, v6
                                        ; implicit-def: $vgpr114
	s_and_saveexec_b32 s2, s0
	s_delay_alu instid0(SALU_CYCLE_1)
	s_xor_b32 s0, exec_lo, s2
	s_cbranch_execz .LBB4_47
; %bb.42:
	v_cndmask_b32_e64 v7, 0, 1, vcc_lo
	s_mov_b32 s2, exec_lo
	s_delay_alu instid0(VALU_DEP_1) | instskip(NEXT) | instid1(VALU_DEP_1)
	v_sub_nc_u32_e32 v7, v30, v7
	v_cmpx_ge_u32_e64 v0, v7
	s_xor_b32 s2, exec_lo, s2
; %bb.43:
                                        ; implicit-def: $vgpr6
; %bb.44:
	s_delay_alu instid0(SALU_CYCLE_1)
	s_or_saveexec_b32 s2, s2
	v_mov_b32_e32 v114, 16
	s_xor_b32 exec_lo, exec_lo, s2
; %bb.45:
	v_sub_nc_u32_e32 v6, v30, v6
	s_delay_alu instid0(VALU_DEP_1)
	v_cmp_lt_i32_e32 vcc_lo, v0, v6
	v_cndmask_b32_e64 v114, 32, 0, vcc_lo
; %bb.46:
	s_or_b32 exec_lo, exec_lo, s2
.LBB4_47:
	s_and_not1_saveexec_b32 s0, s0
; %bb.48:
	v_mov_b32_e32 v114, 8
; %bb.49:
	s_or_b32 exec_lo, exec_lo, s0
.LBB4_50:
	s_delay_alu instid0(SALU_CYCLE_1) | instskip(SKIP_1) | instid1(VALU_DEP_1)
	s_or_b32 exec_lo, exec_lo, s1
	s_wait_loadcnt 0x3
	v_dual_mov_b32 v35, -1 :: v_dual_bitop2_b32 v6, 36, v114 bitop3:0x40
	s_delay_alu instid0(VALU_DEP_1)
	v_cmp_ne_u32_e32 vcc_lo, 0, v6
	s_and_saveexec_b32 s0, vcc_lo
	s_cbranch_execz .LBB4_52
; %bb.51:
	s_trap 2
	ds_load_b32 v35, v0
.LBB4_52:
	s_or_b32 exec_lo, exec_lo, s0
	v_and_b32_e32 v6, 24, v114
	s_mov_b32 s1, exec_lo
	s_delay_alu instid0(VALU_DEP_1)
	v_cmpx_ne_u32_e32 0, v6
	s_cbranch_execz .LBB4_54
; %bb.53:
	s_trap 2
	s_wait_dscnt 0x0
	ds_load_b32 v35, v0
.LBB4_54:
	s_or_b32 exec_lo, exec_lo, s1
	v_lshrrev_b64 v[8:9], 31, v[8:9]
	v_mov_b64_e32 v[18:19], 0
	v_mov_b64_e32 v[6:7], 0
                                        ; implicit-def: $vgpr16_vgpr17
                                        ; implicit-def: $vgpr22
                                        ; implicit-def: $vgpr24_vgpr25
                                        ; implicit-def: $vgpr32_vgpr33
                                        ; implicit-def: $vgpr20_vgpr21
	s_delay_alu instid0(VALU_DEP_3)
	v_and_b32_e32 v38, 3, v8
	s_and_saveexec_b32 s0, vcc_lo
	s_cbranch_execz .LBB4_64
; %bb.55:
	s_trap 2
	ds_load_b64 v[6:7], v0
	v_and_b32_e32 v8, 0xffff, v38
	s_mov_b32 s1, exec_lo
                                        ; implicit-def: $vgpr16_vgpr17
	s_wait_dscnt 0x0
	v_readfirstlane_b32 s2, v6
	v_readfirstlane_b32 s3, v7
	flat_load_b64 v[6:7], v35, s[2:3] scale_offset
	s_wait_loadcnt_dscnt 0x0
	v_mad_nc_u64_u32 v[28:29], 0xa8, v8, v[6:7]
	flat_load_b32 v6, v[28:29] offset:640
	s_wait_loadcnt_dscnt 0x0
	v_cmpx_eq_u32_e32 1, v6
	s_cbranch_execz .LBB4_57
; %bb.56:
	flat_load_b64 v[16:17], v[28:29] offset:648
	v_or_b32_e32 v114, 0x2000, v114
	s_wait_loadcnt_dscnt 0x0
	flat_load_b64 v[6:7], v[16:17]
	s_trap 2
	s_wait_loadcnt_dscnt 0x0
	ds_store_b64 v0, v[6:7]
	flat_load_b64 v[6:7], v[16:17] offset:8
	s_wait_loadcnt_dscnt 0x0
	ds_store_b64 v0, v[6:7]
	flat_load_b64 v[6:7], v[16:17] offset:16
	s_wait_loadcnt_dscnt 0x0
	ds_store_b64 v0, v[6:7]
.LBB4_57:
	s_wait_xcnt 0x0
	s_or_b32 exec_lo, exec_lo, s1
	flat_load_b64 v[8:9], v[28:29] offset:608
	v_and_b32_e32 v6, 32, v114
	s_mov_b32 s1, exec_lo
                                        ; implicit-def: $vgpr20_vgpr21
	s_wait_xcnt 0x0
	s_delay_alu instid0(VALU_DEP_1)
	v_cmpx_ne_u32_e32 0, v6
	s_cbranch_execz .LBB4_59
; %bb.58:
	flat_load_b64 v[20:21], v[28:29] offset:560
	global_wb scope:SCOPE_SYS
	s_wait_storecnt 0x0
	s_wait_xcnt 0x0
	s_wait_loadcnt_dscnt 0x0
	flat_store_b64 v[20:21], v[8:9] scope:SCOPE_SYS
.LBB4_59:
	s_wait_xcnt 0x0
	s_or_b32 exec_lo, exec_lo, s1
	v_and_b32_e32 v22, 4, v114
	v_add_nc_u64_e32 v[18:19], 0x1f8, v[28:29]
	v_mov_b64_e32 v[6:7], 0
                                        ; implicit-def: $vgpr24_vgpr25
                                        ; implicit-def: $vgpr32_vgpr33
	s_delay_alu instid0(VALU_DEP_3)
	v_cmp_ne_u32_e32 vcc_lo, 0, v22
                                        ; implicit-def: $vgpr22
	s_and_saveexec_b32 s1, vcc_lo
	s_cbranch_execz .LBB4_63
; %bb.60:
	v_and_b32_e32 v6, 0x800, v114
	s_mov_b32 s2, exec_lo
	s_delay_alu instid0(VALU_DEP_1)
	v_cmpx_eq_u32_e32 0, v6
	s_cbranch_execz .LBB4_62
; %bb.61:
	s_trap 2
	ds_store_b64 v0, v[18:19]
.LBB4_62:
	s_or_b32 exec_lo, exec_lo, s2
	flat_load_b64 v[20:21], v[28:29] offset:552
	s_wait_loadcnt_dscnt 0x0
	flat_load_b64 v[32:33], v[20:21] scope:SCOPE_SYS
	s_clause 0x2
	flat_load_b64 v[6:7], v[28:29] offset:600
	flat_load_b32 v22, v[28:29] offset:576
	flat_load_b64 v[24:25], v[28:29] offset:520
	s_wait_xcnt 0x0
	v_or_b32_e32 v28, 0x100, v114
	s_wait_loadcnt_dscnt 0x202
	v_cmp_eq_u64_e32 vcc_lo, 0, v[6:7]
	s_delay_alu instid0(VALU_DEP_2)
	v_cndmask_b32_e32 v114, v28, v114, vcc_lo
.LBB4_63:
	s_or_b32 exec_lo, exec_lo, s1
.LBB4_64:
	s_delay_alu instid0(SALU_CYCLE_1) | instskip(NEXT) | instid1(VALU_DEP_1)
	s_or_b32 exec_lo, exec_lo, s0
	v_and_b32_e32 v28, 24, v114
	s_delay_alu instid0(VALU_DEP_1)
	v_cmp_ne_u32_e32 vcc_lo, 0, v28
                                        ; implicit-def: $vgpr28_vgpr29
	s_and_saveexec_b32 s0, vcc_lo
	s_cbranch_execz .LBB4_72
; %bb.65:
	s_trap 2
	ds_load_b64 v[6:7], v0
	s_wait_loadcnt_dscnt 0x1
	v_and_b32_e32 v8, 0xffff, v38
	v_or_b32_e32 v28, 0x100, v114
	s_wait_dscnt 0x0
	v_readfirstlane_b32 s2, v6
	v_readfirstlane_b32 s3, v7
	flat_load_b64 v[6:7], v35, s[2:3] scale_offset
	s_wait_loadcnt_dscnt 0x0
	v_mad_nc_u64_u32 v[18:19], 0xa8, v8, v[6:7]
	flat_load_b128 v[6:9], v[18:19] offset:96
	s_wait_loadcnt_dscnt 0x0
	v_cmp_eq_u64_e32 vcc_lo, 0, v[6:7]
	v_cndmask_b32_e32 v114, v28, v114, vcc_lo
	s_delay_alu instid0(VALU_DEP_1) | instskip(NEXT) | instid1(VALU_DEP_1)
	v_and_b32_e32 v28, 16, v114
	v_cmp_ne_u32_e32 vcc_lo, 0, v28
                                        ; implicit-def: $vgpr28_vgpr29
	s_wait_xcnt 0x0
	s_and_saveexec_b32 s1, vcc_lo
	s_cbranch_execz .LBB4_67
; %bb.66:
	s_clause 0x2
	flat_load_b64 v[20:21], v[18:19] offset:48
	flat_load_b64 v[28:29], v[18:19] offset:120
	;; [unrolled: 1-line block ×3, first 2 shown]
.LBB4_67:
	s_wait_xcnt 0x0
	s_or_b32 exec_lo, exec_lo, s1
	v_and_b32_e32 v35, 8, v114
	s_mov_b32 s1, exec_lo
	s_delay_alu instid0(VALU_DEP_1)
	v_cmpx_ne_u32_e32 0, v35
	s_cbranch_execz .LBB4_71
; %bb.68:
	s_wait_loadcnt_dscnt 0x202
	v_and_b32_e32 v20, 0x800, v114
	s_mov_b32 s2, exec_lo
	s_delay_alu instid0(VALU_DEP_1)
	v_cmpx_eq_u32_e32 0, v20
	s_cbranch_execz .LBB4_70
; %bb.69:
	s_trap 2
	ds_store_b64 v0, v[18:19]
.LBB4_70:
	s_or_b32 exec_lo, exec_lo, s2
	flat_load_b64 v[20:21], v[18:19] offset:56
	s_wait_loadcnt_dscnt 0x0
	flat_load_b64 v[32:33], v[20:21] scope:SCOPE_SYS
	s_clause 0x1
	flat_load_b32 v22, v[18:19] offset:72
	flat_load_b64 v[24:25], v[18:19] offset:16
.LBB4_71:
	s_wait_xcnt 0x0
	s_or_b32 exec_lo, exec_lo, s1
.LBB4_72:
	s_delay_alu instid0(SALU_CYCLE_1)
	s_or_b32 exec_lo, exec_lo, s0
	v_cmp_eq_u32_e64 s0, 0, v0
	s_and_saveexec_b32 s1, s0
	s_cbranch_execz .LBB4_74
; %bb.73:
	flat_load_b64 v[38:39], v[2:3] offset:32
	s_wait_loadcnt 0x3
	v_dual_mov_b32 v48, v12 :: v_dual_mov_b32 v49, v13
	v_dual_mov_b32 v50, v10 :: v_dual_mov_b32 v51, v11
	ds_store_2addr_b64 v0, v[48:49], v[50:51] offset1:1
	s_trap 2
	s_wait_loadcnt_dscnt 0x1
	ds_store_b64 v0, v[38:39]
	ds_store_b64 v0, v[26:27]
.LBB4_74:
	s_wait_xcnt 0x0
	s_or_b32 exec_lo, exec_lo, s1
	s_wait_loadcnt 0x1
	v_mov_b64_e32 v[26:27], 0
	s_wait_loadcnt 0x0
	v_and_b32_e32 v115, 0xffff, v1
	s_mov_b32 s24, exec_lo
	s_trap 2
	v_cmpx_ne_u64_e32 0, v[4:5]
	s_cbranch_execz .LBB4_1004
; %bb.75:
	flat_load_b32 v80, v[2:3] offset:4
	v_cvt_f64_u32_e32 v[26:27], 0
	s_wait_dscnt 0x1
	v_dual_lshlrev_b32 v1, 9, v34 :: v_dual_mov_b32 v35, 0
	v_cmp_ne_u32_e64 s1, v36, v23
	v_dual_lshrrev_b32 v36, 5, v30 :: v_dual_ashrrev_i32 v39, 31, v0
	s_wait_xcnt 0x0
	s_delay_alu instid0(VALU_DEP_3) | instskip(SKIP_3) | instid1(VALU_DEP_4)
	v_and_b32_e32 v2, 0x3ffffe00, v1
	v_dual_lshlrev_b32 v38, 4, v0 :: v_dual_mov_b32 v116, 1
	v_cmp_ne_u64_e64 s14, v[12:13], v[10:11]
	v_dual_mov_b32 v117, 0x88 :: v_dual_lshrrev_b32 v10, 27, v39
	v_cvt_f64_u32_e32 v[52:53], v2
	v_and_b32_e32 v1, 0x1fe0, v30
	v_lshlrev_b32_e32 v118, 9, v36
	s_ashr_i32 s11, s10, 31
	v_cmp_ne_u32_e64 s2, v37, v23
	v_dual_ashrrev_i32 v23, 31, v22 :: v_dual_bitop2_b32 v34, 31, v31 bitop3:0x40
	v_subrev_nc_u32_e32 v64, 32, v1
	s_xor_b32 s15, s7, -1
	s_lshr_b32 s7, s11, 24
	v_cmp_eq_u32_e32 vcc_lo, 32, v30
	v_mov_b64_e32 v[48:49], 0
	v_cmp_eq_u64_e64 s5, 0, v[28:29]
	v_cmp_ne_u64_e64 s6, 0, v[28:29]
	v_mov_b64_e32 v[50:51], 0
	s_add_co_i32 s10, s10, s7
	v_cmp_ne_u32_e64 s3, 32, v30
	v_cmp_ne_u32_e64 s4, v30, v115
	v_dual_mov_b32 v3, v35 :: v_dual_mov_b32 v37, v35
	v_ldexp_f64 v[54:55], v[26:27], 32
	v_mov_b64_e32 v[26:27], 0
	v_cmp_eq_u32_e64 s7, 0, v34
	v_dual_mov_b32 v67, v35 :: v_dual_lshlrev_b32 v66, 10, v36
	s_ashr_i32 s26, s10, 8
	s_mov_b32 s25, 0
	s_and_b32 s27, s15, s14
	s_xor_b32 s29, vcc_lo, -1
	s_trap 2
	v_add_nc_u32_e32 v10, v0, v10
	v_dual_ashrrev_i32 v39, 31, v38 :: v_dual_ashrrev_i32 v65, 31, v64
	s_delay_alu instid0(VALU_DEP_2) | instskip(SKIP_1) | instid1(VALU_DEP_3)
	v_ashrrev_i32_e32 v119, 5, v10
	v_and_b32_e32 v11, 0xffffffe0, v10
	v_add_nc_u64_e32 v[70:71], 32, v[64:65]
	s_delay_alu instid0(VALU_DEP_3) | instskip(NEXT) | instid1(VALU_DEP_3)
	v_lshlrev_b32_e32 v10, 10, v119
	v_sub_nc_u32_e32 v40, v0, v11
	s_delay_alu instid0(VALU_DEP_1)
	v_cmp_lt_i32_e64 s10, v40, v83
	v_cmp_le_i32_e64 s12, v40, v83
	v_cmp_gt_i32_e64 s13, 1, v40
	v_add_f64_e32 v[52:53], v[54:55], v[52:53]
	v_dual_mov_b32 v55, v35 :: v_dual_lshlrev_b32 v54, 8, v36
	v_add_nc_u32_e32 v68, 0xfffffe00, v118
	s_delay_alu instid0(VALU_DEP_1) | instskip(SKIP_3) | instid1(VALU_DEP_3)
	v_ashrrev_i32_e32 v69, 31, v68
	s_wait_loadcnt_dscnt 0x0
	v_and_b32_e32 v11, 1, v80
	v_lshl_add_u32 v82, v40, 4, v10
	v_add_nc_u64_e32 v[80:81], 0x200, v[68:69]
	v_sub_nc_u32_e32 v41, 0, v119
	s_delay_alu instid0(VALU_DEP_4) | instskip(NEXT) | instid1(VALU_DEP_4)
	v_cmp_eq_u32_e64 s11, 1, v11
	v_ashrrev_i32_e32 v83, 31, v82
	s_xor_b32 s28, s11, -1
	s_branch .LBB4_77
.LBB4_76:                               ;   in Loop: Header=BB4_77 Depth=1
	s_wait_xcnt 0x0
	s_or_b32 exec_lo, exec_lo, s14
	v_add_nc_u64_e32 v[50:51], v[50:51], v[2:3]
	s_delay_alu instid0(VALU_DEP_1) | instskip(SKIP_1) | instid1(SALU_CYCLE_1)
	v_cmp_ge_u64_e32 vcc_lo, v[50:51], v[4:5]
	s_or_b32 s25, vcc_lo, s25
	s_and_not1_b32 exec_lo, exec_lo, s25
	s_cbranch_execz .LBB4_1003
.LBB4_77:                               ; =>This Loop Header: Depth=1
                                        ;     Child Loop BB4_96 Depth 2
                                        ;     Child Loop BB4_131 Depth 2
	;; [unrolled: 1-line block ×4, first 2 shown]
                                        ;       Child Loop BB4_215 Depth 3
                                        ;     Child Loop BB4_221 Depth 2
                                        ;       Child Loop BB4_222 Depth 3
                                        ;     Child Loop BB4_232 Depth 2
                                        ;     Child Loop BB4_237 Depth 2
                                        ;       Child Loop BB4_238 Depth 3
                                        ;     Child Loop BB4_249 Depth 2
                                        ;     Child Loop BB4_254 Depth 2
	;; [unrolled: 1-line block ×25, first 2 shown]
                                        ;       Child Loop BB4_301 Depth 3
                                        ;     Child Loop BB4_307 Depth 2
                                        ;       Child Loop BB4_308 Depth 3
                                        ;     Child Loop BB4_318 Depth 2
                                        ;     Child Loop BB4_323 Depth 2
                                        ;       Child Loop BB4_324 Depth 3
                                        ;     Child Loop BB4_335 Depth 2
                                        ;     Child Loop BB4_340 Depth 2
	;; [unrolled: 1-line block ×21, first 2 shown]
	v_sub_nc_u64_e32 v[10:11], v[4:5], v[50:51]
	v_max_num_f64_e32 v[84:85], v[52:53], v[52:53]
	s_mov_b32 s40, 0
	s_delay_alu instid0(VALU_DEP_2) | instskip(NEXT) | instid1(VALU_DEP_3)
	v_cvt_f64_u32_e32 v[12:13], v11
	v_cvt_f64_u32_e32 v[10:11], v10
	s_delay_alu instid0(VALU_DEP_2) | instskip(NEXT) | instid1(VALU_DEP_1)
	v_ldexp_f64 v[12:13], v[12:13], 32
	v_add_f64_e32 v[10:11], v[12:13], v[10:11]
	s_delay_alu instid0(VALU_DEP_1) | instskip(NEXT) | instid1(VALU_DEP_1)
	v_min_num_f64_e32 v[10:11], v[84:85], v[10:11]
	v_cvt_i32_f64_e32 v12, v[10:11]
	s_delay_alu instid0(VALU_DEP_1) | instskip(SKIP_2) | instid1(VALU_DEP_3)
	v_max_i32_e32 v42, 0, v12
	v_cmp_gt_i32_e64 s14, 1, v12
	v_cmp_lt_i32_e64 s15, 0, v12
	v_add_nc_u32_e32 v10, 15, v42
	s_delay_alu instid0(VALU_DEP_1) | instskip(NEXT) | instid1(VALU_DEP_1)
	v_ashrrev_i32_e32 v11, 31, v10
	v_lshrrev_b32_e32 v11, 28, v11
	s_delay_alu instid0(VALU_DEP_1) | instskip(NEXT) | instid1(VALU_DEP_1)
	v_add_nc_u32_e32 v10, v10, v11
	v_and_b32_e32 v13, -16, v10
	v_add_nc_u64_e32 v[10:11], v[50:51], v[14:15]
	s_delay_alu instid0(VALU_DEP_2) | instskip(SKIP_1) | instid1(SALU_CYCLE_1)
	v_max_i32_e32 v84, s26, v13
	s_and_saveexec_b32 s16, s1
	s_xor_b32 s41, exec_lo, s16
	s_cbranch_execz .LBB4_85
; %bb.78:                               ;   in Loop: Header=BB4_77 Depth=1
	s_mov_b32 s17, 0
	s_and_saveexec_b32 s16, s2
	s_delay_alu instid0(SALU_CYCLE_1)
	s_xor_b32 s40, exec_lo, s16
	s_cbranch_execz .LBB4_570
; %bb.79:                               ;   in Loop: Header=BB4_77 Depth=1
	v_mov_b32_e32 v12, 0
	s_and_saveexec_b32 s42, s15
	s_cbranch_execz .LBB4_427
; %bb.80:                               ;   in Loop: Header=BB4_77 Depth=1
	s_and_saveexec_b32 s16, s0
	s_cbranch_execz .LBB4_82
; %bb.81:                               ;   in Loop: Header=BB4_77 Depth=1
	s_trap 2
	ds_load_b128 v[96:99], v0
	s_wait_dscnt 0x0
	v_add_nc_u64_e32 v[12:13], v[98:99], v[10:11]
	v_cmp_ne_u64_e32 vcc_lo, 0, v[98:99]
	v_add_nc_u64_e32 v[10:11], v[96:97], v[10:11]
	s_delay_alu instid0(VALU_DEP_3)
	v_dual_cndmask_b32 v13, 0, v13 :: v_dual_cndmask_b32 v12, 0, v12
	ds_store_b64 v0, v[10:11]
	ds_store_b64 v0, v[12:13]
.LBB4_82:                               ;   in Loop: Header=BB4_77 Depth=1
	s_or_b32 exec_lo, exec_lo, s16
	v_and_b32_e32 v10, 12, v114
	v_min_i32_e32 v84, v84, v42
	s_mov_b32 s17, exec_lo
	s_delay_alu instid0(VALU_DEP_2)
	v_cmpx_ne_u32_e32 0, v10
	s_cbranch_execz .LBB4_123
; %bb.83:                               ;   in Loop: Header=BB4_77 Depth=1
	v_and_b32_e32 v34, 8, v114
	v_add_nc_u64_e32 v[10:11], 1, v[8:9]
	s_mov_b32 s18, exec_lo
	s_wait_loadcnt_dscnt 0x1
	s_delay_alu instid0(VALU_DEP_2) | instskip(NEXT) | instid1(VALU_DEP_1)
	v_add_nc_u64_e32 v[12:13], v[32:33], v[34:35]
	v_cmpx_lt_u64_e64 v[12:13], v[10:11]
	s_cbranch_execz .LBB4_110
; %bb.84:                               ;   in Loop: Header=BB4_77 Depth=1
	v_and_b32_e32 v9, 64, v114
	s_mov_b32 s19, 0
	s_mov_b32 s44, 0
                                        ; implicit-def: $sgpr20
                                        ; implicit-def: $sgpr21
                                        ; implicit-def: $sgpr43
	s_delay_alu instid0(VALU_DEP_1)
	v_cmp_eq_u32_e32 vcc_lo, 0, v9
	s_branch .LBB4_96
.LBB4_85:                               ;   in Loop: Header=BB4_77 Depth=1
	s_and_not1_saveexec_b32 s41, s41
	s_cbranch_execz .LBB4_1001
.LBB4_86:                               ;   in Loop: Header=BB4_77 Depth=1
	s_mov_b32 s17, 0
	s_mov_b32 s16, s40
	s_and_saveexec_b32 s18, s27
	s_delay_alu instid0(SALU_CYCLE_1)
	s_xor_b32 s42, exec_lo, s18
	s_cbranch_execz .LBB4_619
; %bb.87:                               ;   in Loop: Header=BB4_77 Depth=1
	v_mov_b32_e32 v12, 0
	s_and_saveexec_b32 s43, s15
	s_cbranch_execz .LBB4_478
; %bb.88:                               ;   in Loop: Header=BB4_77 Depth=1
	s_and_saveexec_b32 s16, s0
	s_cbranch_execz .LBB4_90
; %bb.89:                               ;   in Loop: Header=BB4_77 Depth=1
	s_trap 2
	ds_load_b64 v[12:13], v0
	ds_load_2addr_b64 v[96:99], v0 offset1:1
	s_wait_dscnt 0x1
	v_add_nc_u64_e32 v[86:87], v[12:13], v[10:11]
	v_cmp_ne_u64_e32 vcc_lo, 0, v[12:13]
	s_wait_dscnt 0x0
	v_add_nc_u64_e32 v[12:13], v[96:97], v[10:11]
	v_add_nc_u64_e32 v[10:11], v[98:99], v[10:11]
	s_delay_alu instid0(VALU_DEP_4)
	v_dual_cndmask_b32 v87, 0, v87 :: v_dual_cndmask_b32 v86, 0, v86
	ds_store_b64 v0, v[12:13]
	ds_store_b64 v0, v[10:11]
	;; [unrolled: 1-line block ×3, first 2 shown]
.LBB4_90:                               ;   in Loop: Header=BB4_77 Depth=1
	s_or_b32 exec_lo, exec_lo, s16
	v_and_b32_e32 v10, 8, v114
	v_min_i32_e32 v84, v84, v42
	s_mov_b32 s17, exec_lo
	s_delay_alu instid0(VALU_DEP_2)
	v_cmpx_ne_u32_e32 0, v10
	s_cbranch_execz .LBB4_147
; %bb.91:                               ;   in Loop: Header=BB4_77 Depth=1
	s_wait_loadcnt_dscnt 0x1
	v_add_nc_u64_e32 v[12:13], 8, v[32:33]
	v_add_nc_u64_e32 v[10:11], 1, v[8:9]
	s_mov_b32 s18, exec_lo
	s_delay_alu instid0(VALU_DEP_1)
	v_cmpx_lt_u64_e64 v[12:13], v[10:11]
	s_cbranch_execz .LBB4_138
; %bb.92:                               ;   in Loop: Header=BB4_77 Depth=1
	v_and_b32_e32 v9, 64, v114
	s_mov_b32 s19, 0
	s_mov_b32 s45, 0
                                        ; implicit-def: $sgpr20
                                        ; implicit-def: $sgpr21
                                        ; implicit-def: $sgpr44
	s_delay_alu instid0(VALU_DEP_1)
	v_cmp_eq_u32_e32 vcc_lo, 0, v9
	s_branch .LBB4_103
.LBB4_93:                               ;   in Loop: Header=BB4_96 Depth=2
	s_wait_loadcnt_dscnt 0x0
	v_add_nc_u64_e32 v[12:13], v[32:33], v[34:35]
	s_or_b32 s47, s47, exec_lo
	s_delay_alu instid0(VALU_DEP_1)
	v_cmp_ge_u64_e64 s16, v[12:13], v[10:11]
	s_or_not1_b32 s46, s16, exec_lo
.LBB4_94:                               ;   in Loop: Header=BB4_96 Depth=2
	s_or_b32 exec_lo, exec_lo, s57
	s_delay_alu instid0(SALU_CYCLE_1)
	s_and_not1_b32 s16, s43, exec_lo
	s_and_b32 s43, s47, exec_lo
	s_and_not1_b32 s21, s21, exec_lo
	s_and_b32 s46, s46, exec_lo
	s_or_b32 s43, s16, s43
	s_or_b32 s21, s21, s46
.LBB4_95:                               ;   in Loop: Header=BB4_96 Depth=2
	s_or_b32 exec_lo, exec_lo, s45
	s_delay_alu instid0(SALU_CYCLE_1) | instskip(NEXT) | instid1(SALU_CYCLE_1)
	s_and_b32 s16, exec_lo, s21
	s_or_b32 s19, s16, s19
	s_and_not1_b32 s16, s20, exec_lo
	s_and_b32 s20, s43, exec_lo
	s_delay_alu instid0(SALU_CYCLE_1)
	s_or_b32 s20, s16, s20
	s_and_not1_b32 exec_lo, exec_lo, s19
	s_cbranch_execz .LBB4_107
.LBB4_96:                               ;   Parent Loop BB4_77 Depth=1
                                        ; =>  This Inner Loop Header: Depth=2
	s_sleep 1
	s_wait_loadcnt_dscnt 0x0
	flat_load_b64 v[32:33], v[20:21] scope:SCOPE_SYS
	s_or_b32 s43, s43, exec_lo
	s_or_b32 s21, s21, exec_lo
                                        ; implicit-def: $vgpr9
	s_wait_xcnt 0x0
	s_and_saveexec_b32 s45, vcc_lo
	s_cbranch_execz .LBB4_95
; %bb.97:                               ;   in Loop: Header=BB4_96 Depth=2
	s_cmp_lt_i32 s44, 0x270f
	s_mov_b32 s46, -1
	s_cselect_b32 s56, -1, 0
	s_cmp_gt_i32 s44, 0x270e
	s_cbranch_scc0 .LBB4_99
; %bb.98:                               ;   in Loop: Header=BB4_96 Depth=2
	s_trap 2
	ds_load_b64 v[12:13], v0
	s_and_not1_b32 s44, s56, exec_lo
	s_mov_b32 s47, 0
	s_wait_storecnt 0x0
	s_wait_loadcnt_dscnt 0x0
	flat_load_b32 v9, v[12:13] scope:SCOPE_SYS
	s_wait_loadcnt_dscnt 0x0
	global_inv scope:SCOPE_SYS
	v_cmp_eq_u32_e64 s16, 0, v9
	s_and_b32 s16, s16, exec_lo
	s_delay_alu instid0(SALU_CYCLE_1)
	s_or_b32 s56, s44, s16
	s_mov_b32 s44, 0
	s_and_saveexec_b32 s57, s56
	s_cbranch_execz .LBB4_94
	s_branch .LBB4_93
.LBB4_99:                               ;   in Loop: Header=BB4_96 Depth=2
	s_add_co_i32 s44, s44, 1
	s_mov_b32 s47, -1
                                        ; implicit-def: $vgpr9
	s_and_saveexec_b32 s57, s56
	s_cbranch_execz .LBB4_94
	s_branch .LBB4_93
.LBB4_100:                              ;   in Loop: Header=BB4_103 Depth=2
	s_wait_loadcnt_dscnt 0x0
	v_add_nc_u64_e32 v[12:13], 8, v[32:33]
	s_or_b32 s56, s56, exec_lo
	s_delay_alu instid0(VALU_DEP_1)
	v_cmp_ge_u64_e64 s16, v[12:13], v[10:11]
	s_or_not1_b32 s47, s16, exec_lo
.LBB4_101:                              ;   in Loop: Header=BB4_103 Depth=2
	s_or_b32 exec_lo, exec_lo, s58
	s_delay_alu instid0(SALU_CYCLE_1)
	s_and_not1_b32 s16, s44, exec_lo
	s_and_b32 s44, s56, exec_lo
	s_and_not1_b32 s21, s21, exec_lo
	s_and_b32 s47, s47, exec_lo
	s_or_b32 s44, s16, s44
	s_or_b32 s21, s21, s47
.LBB4_102:                              ;   in Loop: Header=BB4_103 Depth=2
	s_or_b32 exec_lo, exec_lo, s46
	s_delay_alu instid0(SALU_CYCLE_1) | instskip(NEXT) | instid1(SALU_CYCLE_1)
	s_and_b32 s16, exec_lo, s21
	s_or_b32 s19, s16, s19
	s_and_not1_b32 s16, s20, exec_lo
	s_and_b32 s20, s44, exec_lo
	s_delay_alu instid0(SALU_CYCLE_1)
	s_or_b32 s20, s16, s20
	s_and_not1_b32 exec_lo, exec_lo, s19
	s_cbranch_execz .LBB4_135
.LBB4_103:                              ;   Parent Loop BB4_77 Depth=1
                                        ; =>  This Inner Loop Header: Depth=2
	s_sleep 1
	s_wait_loadcnt_dscnt 0x0
	flat_load_b64 v[32:33], v[20:21] scope:SCOPE_SYS
	s_or_b32 s44, s44, exec_lo
	s_or_b32 s21, s21, exec_lo
                                        ; implicit-def: $vgpr9
	s_wait_xcnt 0x0
	s_and_saveexec_b32 s46, vcc_lo
	s_cbranch_execz .LBB4_102
; %bb.104:                              ;   in Loop: Header=BB4_103 Depth=2
	s_cmp_lt_i32 s45, 0x270f
	s_mov_b32 s47, -1
	s_cselect_b32 s57, -1, 0
	s_cmp_gt_i32 s45, 0x270e
	s_cbranch_scc0 .LBB4_106
; %bb.105:                              ;   in Loop: Header=BB4_103 Depth=2
	s_trap 2
	ds_load_b64 v[12:13], v0
	s_and_not1_b32 s45, s57, exec_lo
	s_mov_b32 s56, 0
	s_wait_storecnt 0x0
	s_wait_loadcnt_dscnt 0x0
	flat_load_b32 v9, v[12:13] scope:SCOPE_SYS
	s_wait_loadcnt_dscnt 0x0
	global_inv scope:SCOPE_SYS
	v_cmp_eq_u32_e64 s16, 0, v9
	s_and_b32 s16, s16, exec_lo
	s_delay_alu instid0(SALU_CYCLE_1)
	s_or_b32 s57, s45, s16
	s_mov_b32 s45, 0
	s_and_saveexec_b32 s58, s57
	s_cbranch_execz .LBB4_101
	s_branch .LBB4_100
.LBB4_106:                              ;   in Loop: Header=BB4_103 Depth=2
	s_add_co_i32 s45, s45, 1
	s_mov_b32 s56, -1
                                        ; implicit-def: $vgpr9
	s_and_saveexec_b32 s58, s57
	s_cbranch_execz .LBB4_101
	s_branch .LBB4_100
.LBB4_107:                              ;   in Loop: Header=BB4_77 Depth=1
	s_or_b32 exec_lo, exec_lo, s19
	s_xor_b32 s16, s20, -1
	s_delay_alu instid0(SALU_CYCLE_1) | instskip(NEXT) | instid1(SALU_CYCLE_1)
	s_and_saveexec_b32 s19, s16
	s_xor_b32 s16, exec_lo, s19
	s_cbranch_execz .LBB4_109
; %bb.108:                              ;   in Loop: Header=BB4_77 Depth=1
	v_or_b32_e32 v114, 64, v114
	s_wait_storecnt 0x0
	s_wait_loadcnt_dscnt 0x0
	ds_store_b32 v0, v9
	s_trap 2
.LBB4_109:                              ;   in Loop: Header=BB4_77 Depth=1
	s_or_b32 exec_lo, exec_lo, s16
.LBB4_110:                              ;   in Loop: Header=BB4_77 Depth=1
	s_delay_alu instid0(SALU_CYCLE_1) | instskip(SKIP_3) | instid1(VALU_DEP_1)
	s_or_b32 exec_lo, exec_lo, s18
	v_and_b32_e32 v9, 0x108, v114
	s_mov_b32 s16, exec_lo
	;;#ASMSTART
	s_wakeup
	;;#ASMEND
                                        ; implicit-def: $vgpr12_vgpr13
	v_cmpx_ne_u32_e32 0x108, v9
	s_xor_b32 s16, exec_lo, s16
; %bb.111:                              ;   in Loop: Header=BB4_77 Depth=1
	v_dual_mov_b32 v13, v35 :: v_dual_bitop2_b32 v12, 7, v8 bitop3:0x40
; %bb.112:                              ;   in Loop: Header=BB4_77 Depth=1
	s_and_not1_saveexec_b32 s16, s16
	s_cbranch_execz .LBB4_114
; %bb.113:                              ;   in Loop: Header=BB4_77 Depth=1
	v_dual_mov_b32 v13, v35 :: v_dual_bitop2_b32 v12, 7, v8 bitop3:0x40
	v_ashrrev_i32_e32 v85, 31, v84
	s_delay_alu instid0(VALU_DEP_2)
	v_mad_nc_u64_u32 v[8:9], v12, 24, v[6:7]
	flat_store_b64 v[8:9], v[84:85] offset:8
.LBB4_114:                              ;   in Loop: Header=BB4_77 Depth=1
	s_wait_xcnt 0x0
	s_or_b32 exec_lo, exec_lo, s16
	v_and_b32_e32 v8, 0x100, v114
	s_mov_b32 s16, -1
	s_delay_alu instid0(VALU_DEP_1)
	v_cmp_ne_u32_e32 vcc_lo, 0, v8
                                        ; implicit-def: $vgpr8_vgpr9
	s_and_saveexec_b32 s18, vcc_lo
	s_cbranch_execz .LBB4_118
; %bb.115:                              ;   in Loop: Header=BB4_77 Depth=1
	v_mad_nc_u64_u32 v[86:87], v12, 24, v[6:7]
	s_delay_alu instid0(VALU_DEP_1)
	v_mad_u32 v87, v13, 24, v87
	flat_load_b32 v8, v[86:87]
	s_wait_loadcnt_dscnt 0x0
	v_cmp_eq_u32_e64 s16, 1, v8
	v_cmp_ne_u32_e32 vcc_lo, 1, v8
                                        ; implicit-def: $vgpr8_vgpr9
	s_wait_xcnt 0x0
	s_and_saveexec_b32 s19, s16
	s_cbranch_execz .LBB4_117
; %bb.116:                              ;   in Loop: Header=BB4_77 Depth=1
	flat_load_b32 v8, v[86:87] offset:4 scope:SCOPE_SYS
	s_wait_loadcnt_dscnt 0x0
	v_ashrrev_i32_e32 v9, 31, v8
.LBB4_117:                              ;   in Loop: Header=BB4_77 Depth=1
	s_wait_xcnt 0x0
	s_or_b32 exec_lo, exec_lo, s19
	s_delay_alu instid0(SALU_CYCLE_1)
	s_or_not1_b32 s16, vcc_lo, exec_lo
.LBB4_118:                              ;   in Loop: Header=BB4_77 Depth=1
	s_or_b32 exec_lo, exec_lo, s18
	s_and_saveexec_b32 s18, s16
; %bb.119:                              ;   in Loop: Header=BB4_77 Depth=1
	v_mul_u64_e32 v[8:9], v[12:13], v[22:23]
; %bb.120:                              ;   in Loop: Header=BB4_77 Depth=1
	s_or_b32 exec_lo, exec_lo, s18
	v_cmp_eq_u32_e32 vcc_lo, 0, v34
	s_delay_alu instid0(VALU_DEP_2) | instskip(SKIP_3) | instid1(VALU_DEP_1)
	v_add_nc_u64_e32 v[8:9], v[24:25], v[8:9]
	v_and_b32_e32 v13, 0x2000, v114
	s_mov_b32 s16, exec_lo
	v_cndmask_b32_e32 v12, 0xd0, v117, vcc_lo
	v_add_nc_u32_e32 v12, v0, v12
	ds_store_b64 v12, v[8:9] offset:584
	v_cmpx_ne_u32_e32 0, v13
	s_cbranch_execz .LBB4_122
; %bb.121:                              ;   in Loop: Header=BB4_77 Depth=1
	ds_load_b64 v[8:9], v0 offset:872
	s_wait_dscnt 0x0
	v_add_nc_u64_e32 v[8:9], 1, v[8:9]
	ds_store_b64 v0, v[8:9] offset:872
.LBB4_122:                              ;   in Loop: Header=BB4_77 Depth=1
	s_or_b32 exec_lo, exec_lo, s16
	v_mov_b64_e32 v[8:9], v[10:11]
.LBB4_123:                              ;   in Loop: Header=BB4_77 Depth=1
	s_or_b32 exec_lo, exec_lo, s17
	s_and_saveexec_b32 s16, s3
	s_cbranch_execz .LBB4_166
; %bb.124:                              ;   in Loop: Header=BB4_77 Depth=1
	s_and_saveexec_b32 s17, s4
	s_delay_alu instid0(SALU_CYCLE_1)
	s_xor_b32 s17, exec_lo, s17
	s_cbranch_execz .LBB4_163
; %bb.125:                              ;   in Loop: Header=BB4_77 Depth=1
	s_and_saveexec_b32 s18, s7
	s_cbranch_execz .LBB4_162
; %bb.126:                              ;   in Loop: Header=BB4_77 Depth=1
	s_mov_b32 s20, exec_lo
	s_mov_b32 s19, exec_lo
	v_mbcnt_lo_u32_b32 v10, s20, 0
	global_wb scope:SCOPE_DEV
	s_wait_storecnt 0x0
	s_wait_loadcnt_dscnt 0x0
	global_inv scope:SCOPE_DEV
	v_cmpx_eq_u32_e32 0, v10
	s_cbranch_execz .LBB4_128
; %bb.127:                              ;   in Loop: Header=BB4_77 Depth=1
	s_bcnt1_i32_b32 s20, s20
	s_delay_alu instid0(SALU_CYCLE_1)
	v_mov_b32_e32 v34, s20
	s_wait_loadcnt 0x0
	ds_add_u64 v0, v[34:35]
	s_trap 2
.LBB4_128:                              ;   in Loop: Header=BB4_77 Depth=1
	s_or_b32 exec_lo, exec_lo, s19
	s_trap 2
	ds_load_b64 v[10:11], v0
	s_wait_dscnt 0x0
	v_add_nc_u64_e32 v[26:27], v[26:27], v[36:37]
	s_mov_b32 s19, exec_lo
	s_delay_alu instid0(VALU_DEP_1)
	v_cmpx_lt_u64_e64 v[10:11], v[26:27]
	s_cbranch_execz .LBB4_161
; %bb.129:                              ;   in Loop: Header=BB4_77 Depth=1
	s_mov_b32 s20, 0
	s_mov_b32 s44, 0
                                        ; implicit-def: $sgpr21
                                        ; implicit-def: $sgpr43
	s_branch .LBB4_131
.LBB4_130:                              ;   in Loop: Header=BB4_131 Depth=2
	s_or_b32 exec_lo, exec_lo, s46
	s_delay_alu instid0(SALU_CYCLE_1) | instskip(NEXT) | instid1(SALU_CYCLE_1)
	s_and_b32 s45, exec_lo, s47
	s_or_b32 s20, s45, s20
	s_and_not1_b32 s21, s21, exec_lo
	s_and_b32 s45, s43, exec_lo
	s_delay_alu instid0(SALU_CYCLE_1)
	s_or_b32 s21, s21, s45
	s_and_not1_b32 exec_lo, exec_lo, s20
	s_cbranch_execz .LBB4_159
.LBB4_131:                              ;   Parent Loop BB4_77 Depth=1
                                        ; =>  This Inner Loop Header: Depth=2
	s_add_co_i32 s44, s44, 1
	s_delay_alu instid0(SALU_CYCLE_1) | instskip(SKIP_1) | instid1(SALU_CYCLE_1)
	s_cmp_lg_u32 s44, 0x2710
	s_cselect_b32 s45, -1, 0
	s_and_b32 vcc_lo, exec_lo, s45
	s_cbranch_vccz .LBB4_133
; %bb.132:                              ;   in Loop: Header=BB4_131 Depth=2
	s_mov_b32 s47, -1
	s_or_b32 s43, s43, exec_lo
	s_and_saveexec_b32 s46, s45
	s_cbranch_execz .LBB4_130
	s_branch .LBB4_134
.LBB4_133:                              ;   in Loop: Header=BB4_131 Depth=2
	s_trap 2
	ds_load_b64 v[10:11], v0
	s_and_not1_b32 s45, s45, exec_lo
	s_mov_b32 s44, 0
	s_wait_loadcnt_dscnt 0x0
	flat_load_b32 v10, v[10:11] scope:SCOPE_SYS
	s_wait_loadcnt_dscnt 0x0
	global_inv scope:SCOPE_SYS
	v_cmp_eq_u32_e32 vcc_lo, 0, v10
	s_and_b32 s46, vcc_lo, exec_lo
	s_delay_alu instid0(SALU_CYCLE_1)
	s_or_b32 s45, s45, s46
	s_mov_b32 s47, -1
	s_or_b32 s43, s43, exec_lo
	s_and_saveexec_b32 s46, s45
	s_cbranch_execz .LBB4_130
.LBB4_134:                              ;   in Loop: Header=BB4_131 Depth=2
	s_sleep 1
	s_trap 2
	ds_load_b64 v[10:11], v0
	s_wait_dscnt 0x0
	s_and_not1_b32 s43, s43, exec_lo
	v_cmp_ge_u64_e32 vcc_lo, v[10:11], v[26:27]
	s_or_not1_b32 s47, vcc_lo, exec_lo
	s_branch .LBB4_130
.LBB4_135:                              ;   in Loop: Header=BB4_77 Depth=1
	s_or_b32 exec_lo, exec_lo, s19
	s_xor_b32 s16, s20, -1
	s_delay_alu instid0(SALU_CYCLE_1) | instskip(NEXT) | instid1(SALU_CYCLE_1)
	s_and_saveexec_b32 s19, s16
	s_xor_b32 s16, exec_lo, s19
	s_cbranch_execz .LBB4_137
; %bb.136:                              ;   in Loop: Header=BB4_77 Depth=1
	v_or_b32_e32 v114, 64, v114
	s_wait_storecnt 0x0
	s_wait_loadcnt_dscnt 0x0
	ds_store_b32 v0, v9
	s_trap 2
.LBB4_137:                              ;   in Loop: Header=BB4_77 Depth=1
	s_or_b32 exec_lo, exec_lo, s16
.LBB4_138:                              ;   in Loop: Header=BB4_77 Depth=1
	s_delay_alu instid0(SALU_CYCLE_1) | instskip(SKIP_4) | instid1(VALU_DEP_2)
	s_or_b32 exec_lo, exec_lo, s18
	v_and_b32_e32 v9, 0x100, v114
	v_and_b32_e32 v34, 7, v8
	s_mov_b32 s16, -1
	;;#ASMSTART
	s_wakeup
	;;#ASMEND
	v_cmp_ne_u32_e32 vcc_lo, 0, v9
                                        ; implicit-def: $vgpr8_vgpr9
	s_and_saveexec_b32 s18, vcc_lo
	s_cbranch_execz .LBB4_142
; %bb.139:                              ;   in Loop: Header=BB4_77 Depth=1
	v_mad_nc_u64_u32 v[12:13], v34, 24, v[6:7]
	v_ashrrev_i32_e32 v85, 31, v84
	s_clause 0x1
	flat_load_b32 v8, v[12:13]
	flat_store_b64 v[12:13], v[84:85] offset:8
	s_wait_loadcnt_dscnt 0x1
	v_cmp_eq_u32_e64 s16, 1, v8
	v_cmp_ne_u32_e32 vcc_lo, 1, v8
                                        ; implicit-def: $vgpr8_vgpr9
	s_wait_xcnt 0x0
	s_and_saveexec_b32 s19, s16
	s_cbranch_execz .LBB4_141
; %bb.140:                              ;   in Loop: Header=BB4_77 Depth=1
	flat_load_b32 v8, v[12:13] offset:4 scope:SCOPE_SYS
	s_wait_loadcnt_dscnt 0x0
	v_ashrrev_i32_e32 v9, 31, v8
.LBB4_141:                              ;   in Loop: Header=BB4_77 Depth=1
	s_wait_xcnt 0x0
	s_or_b32 exec_lo, exec_lo, s19
	s_delay_alu instid0(SALU_CYCLE_1)
	s_or_not1_b32 s16, vcc_lo, exec_lo
.LBB4_142:                              ;   in Loop: Header=BB4_77 Depth=1
	s_or_b32 exec_lo, exec_lo, s18
	s_and_saveexec_b32 s18, s16
; %bb.143:                              ;   in Loop: Header=BB4_77 Depth=1
	v_mul_u64_e32 v[8:9], v[34:35], v[22:23]
; %bb.144:                              ;   in Loop: Header=BB4_77 Depth=1
	s_or_b32 exec_lo, exec_lo, s18
	s_delay_alu instid0(VALU_DEP_1)
	v_add_nc_u64_e32 v[8:9], v[24:25], v[8:9]
	v_and_b32_e32 v12, 0x2000, v114
	s_mov_b32 s16, exec_lo
	ds_store_b64 v0, v[8:9] offset:792
	v_cmpx_ne_u32_e32 0, v12
	s_cbranch_execz .LBB4_146
; %bb.145:                              ;   in Loop: Header=BB4_77 Depth=1
	ds_load_b64 v[8:9], v0 offset:872
	s_wait_dscnt 0x0
	v_add_nc_u64_e32 v[8:9], 1, v[8:9]
	ds_store_b64 v0, v[8:9] offset:872
.LBB4_146:                              ;   in Loop: Header=BB4_77 Depth=1
	s_or_b32 exec_lo, exec_lo, s16
	v_mov_b64_e32 v[8:9], v[10:11]
.LBB4_147:                              ;   in Loop: Header=BB4_77 Depth=1
	s_or_b32 exec_lo, exec_lo, s17
	s_and_saveexec_b32 s16, s3
	s_cbranch_execz .LBB4_185
; %bb.148:                              ;   in Loop: Header=BB4_77 Depth=1
	s_and_saveexec_b32 s17, s4
	s_delay_alu instid0(SALU_CYCLE_1)
	s_xor_b32 s17, exec_lo, s17
	s_cbranch_execz .LBB4_182
; %bb.149:                              ;   in Loop: Header=BB4_77 Depth=1
	s_and_saveexec_b32 s18, s7
	s_cbranch_execz .LBB4_181
; %bb.150:                              ;   in Loop: Header=BB4_77 Depth=1
	s_mov_b32 s20, exec_lo
	s_mov_b32 s19, exec_lo
	v_mbcnt_lo_u32_b32 v10, s20, 0
	global_wb scope:SCOPE_DEV
	s_wait_storecnt 0x0
	s_wait_loadcnt_dscnt 0x0
	global_inv scope:SCOPE_DEV
	v_cmpx_eq_u32_e32 0, v10
	s_cbranch_execz .LBB4_152
; %bb.151:                              ;   in Loop: Header=BB4_77 Depth=1
	s_bcnt1_i32_b32 s20, s20
	s_delay_alu instid0(SALU_CYCLE_1)
	v_mov_b32_e32 v34, s20
	s_wait_loadcnt 0x0
	ds_add_u64 v0, v[34:35]
	s_trap 2
.LBB4_152:                              ;   in Loop: Header=BB4_77 Depth=1
	s_or_b32 exec_lo, exec_lo, s19
	s_trap 2
	ds_load_b64 v[10:11], v0
	s_wait_dscnt 0x0
	v_add_nc_u64_e32 v[26:27], v[26:27], v[36:37]
	s_mov_b32 s19, exec_lo
	s_delay_alu instid0(VALU_DEP_1)
	v_cmpx_lt_u64_e64 v[10:11], v[26:27]
	s_cbranch_execz .LBB4_180
; %bb.153:                              ;   in Loop: Header=BB4_77 Depth=1
	s_mov_b32 s20, 0
	s_mov_b32 s45, 0
                                        ; implicit-def: $sgpr21
                                        ; implicit-def: $sgpr44
	s_branch .LBB4_155
.LBB4_154:                              ;   in Loop: Header=BB4_155 Depth=2
	s_or_b32 exec_lo, exec_lo, s47
	s_delay_alu instid0(SALU_CYCLE_1) | instskip(NEXT) | instid1(SALU_CYCLE_1)
	s_and_b32 s46, exec_lo, s56
	s_or_b32 s20, s46, s20
	s_and_not1_b32 s21, s21, exec_lo
	s_and_b32 s46, s44, exec_lo
	s_delay_alu instid0(SALU_CYCLE_1)
	s_or_b32 s21, s21, s46
	s_and_not1_b32 exec_lo, exec_lo, s20
	s_cbranch_execz .LBB4_178
.LBB4_155:                              ;   Parent Loop BB4_77 Depth=1
                                        ; =>  This Inner Loop Header: Depth=2
	s_add_co_i32 s45, s45, 1
	s_delay_alu instid0(SALU_CYCLE_1) | instskip(SKIP_1) | instid1(SALU_CYCLE_1)
	s_cmp_lg_u32 s45, 0x2710
	s_cselect_b32 s46, -1, 0
	s_and_b32 vcc_lo, exec_lo, s46
	s_cbranch_vccz .LBB4_157
; %bb.156:                              ;   in Loop: Header=BB4_155 Depth=2
	s_mov_b32 s56, -1
	s_or_b32 s44, s44, exec_lo
	s_and_saveexec_b32 s47, s46
	s_cbranch_execz .LBB4_154
	s_branch .LBB4_158
.LBB4_157:                              ;   in Loop: Header=BB4_155 Depth=2
	s_trap 2
	ds_load_b64 v[10:11], v0
	s_and_not1_b32 s46, s46, exec_lo
	s_mov_b32 s45, 0
	s_wait_loadcnt_dscnt 0x0
	flat_load_b32 v10, v[10:11] scope:SCOPE_SYS
	s_wait_loadcnt_dscnt 0x0
	global_inv scope:SCOPE_SYS
	v_cmp_eq_u32_e32 vcc_lo, 0, v10
	s_and_b32 s47, vcc_lo, exec_lo
	s_delay_alu instid0(SALU_CYCLE_1)
	s_or_b32 s46, s46, s47
	s_mov_b32 s56, -1
	s_or_b32 s44, s44, exec_lo
	s_and_saveexec_b32 s47, s46
	s_cbranch_execz .LBB4_154
.LBB4_158:                              ;   in Loop: Header=BB4_155 Depth=2
	s_sleep 1
	s_trap 2
	ds_load_b64 v[10:11], v0
	s_wait_dscnt 0x0
	s_and_not1_b32 s44, s44, exec_lo
	v_cmp_ge_u64_e32 vcc_lo, v[10:11], v[26:27]
	s_or_not1_b32 s56, vcc_lo, exec_lo
	s_branch .LBB4_154
.LBB4_159:                              ;   in Loop: Header=BB4_77 Depth=1
	s_or_b32 exec_lo, exec_lo, s20
	s_and_saveexec_b32 s20, s21
	s_delay_alu instid0(SALU_CYCLE_1)
	s_xor_b32 s20, exec_lo, s20
	s_cbranch_execz .LBB4_161
; %bb.160:                              ;   in Loop: Header=BB4_77 Depth=1
	ds_store_b32 v0, v116
	s_trap 2
.LBB4_161:                              ;   in Loop: Header=BB4_77 Depth=1
	s_or_b32 exec_lo, exec_lo, s19
	;;#ASMSTART
	s_wakeup
	;;#ASMEND
.LBB4_162:                              ;   in Loop: Header=BB4_77 Depth=1
	s_or_b32 exec_lo, exec_lo, s18
.LBB4_163:                              ;   in Loop: Header=BB4_77 Depth=1
	s_and_not1_saveexec_b32 s17, s17
	s_cbranch_execz .LBB4_165
; %bb.164:                              ;   in Loop: Header=BB4_77 Depth=1
	global_wb scope:SCOPE_DEV
	s_wait_storecnt 0x0
	s_wait_loadcnt_dscnt 0x0
	global_inv scope:SCOPE_DEV
	s_barrier_signal -1
	s_barrier_wait -1
.LBB4_165:                              ;   in Loop: Header=BB4_77 Depth=1
	s_or_b32 exec_lo, exec_lo, s17
.LBB4_166:                              ;   in Loop: Header=BB4_77 Depth=1
	s_delay_alu instid0(SALU_CYCLE_1) | instskip(SKIP_3) | instid1(VALU_DEP_1)
	s_or_b32 exec_lo, exec_lo, s16
	s_trap 2
	ds_load_b32 v10, v0
	v_and_b32_e32 v11, 0x4000, v114
	v_cmp_ne_u32_e32 vcc_lo, 0, v11
	s_and_b32 s17, s29, vcc_lo
	s_delay_alu instid0(SALU_CYCLE_1)
	s_and_saveexec_b32 s16, s17
	s_cbranch_execz .LBB4_204
; %bb.167:                              ;   in Loop: Header=BB4_77 Depth=1
	s_and_saveexec_b32 s17, s4
	s_delay_alu instid0(SALU_CYCLE_1)
	s_xor_b32 s17, exec_lo, s17
	s_cbranch_execz .LBB4_201
; %bb.168:                              ;   in Loop: Header=BB4_77 Depth=1
	s_and_saveexec_b32 s18, s7
	s_cbranch_execz .LBB4_200
; %bb.169:                              ;   in Loop: Header=BB4_77 Depth=1
	s_mov_b32 s20, exec_lo
	s_mov_b32 s19, exec_lo
	v_mbcnt_lo_u32_b32 v11, s20, 0
	global_wb scope:SCOPE_DEV
	s_wait_storecnt 0x0
	s_wait_loadcnt_dscnt 0x0
	global_inv scope:SCOPE_DEV
	v_cmpx_eq_u32_e32 0, v11
	s_cbranch_execz .LBB4_171
; %bb.170:                              ;   in Loop: Header=BB4_77 Depth=1
	s_bcnt1_i32_b32 s20, s20
	s_delay_alu instid0(SALU_CYCLE_1)
	v_mov_b32_e32 v34, s20
	s_wait_loadcnt 0x0
	ds_add_u64 v0, v[34:35]
	s_trap 2
.LBB4_171:                              ;   in Loop: Header=BB4_77 Depth=1
	s_or_b32 exec_lo, exec_lo, s19
	s_trap 2
	ds_load_b64 v[12:13], v0
	s_wait_dscnt 0x0
	v_add_nc_u64_e32 v[26:27], v[26:27], v[36:37]
	s_mov_b32 s19, exec_lo
	s_delay_alu instid0(VALU_DEP_1)
	v_cmpx_lt_u64_e64 v[12:13], v[26:27]
	s_cbranch_execz .LBB4_199
; %bb.172:                              ;   in Loop: Header=BB4_77 Depth=1
	s_mov_b32 s20, 0
	s_mov_b32 s44, 0
                                        ; implicit-def: $sgpr21
                                        ; implicit-def: $sgpr43
	s_branch .LBB4_174
.LBB4_173:                              ;   in Loop: Header=BB4_174 Depth=2
	s_or_b32 exec_lo, exec_lo, s46
	s_delay_alu instid0(SALU_CYCLE_1) | instskip(NEXT) | instid1(SALU_CYCLE_1)
	s_and_b32 s45, exec_lo, s47
	s_or_b32 s20, s45, s20
	s_and_not1_b32 s21, s21, exec_lo
	s_and_b32 s45, s43, exec_lo
	s_delay_alu instid0(SALU_CYCLE_1)
	s_or_b32 s21, s21, s45
	s_and_not1_b32 exec_lo, exec_lo, s20
	s_cbranch_execz .LBB4_197
.LBB4_174:                              ;   Parent Loop BB4_77 Depth=1
                                        ; =>  This Inner Loop Header: Depth=2
	s_add_co_i32 s44, s44, 1
	s_delay_alu instid0(SALU_CYCLE_1) | instskip(SKIP_1) | instid1(SALU_CYCLE_1)
	s_cmp_lg_u32 s44, 0x2710
	s_cselect_b32 s45, -1, 0
	s_and_b32 vcc_lo, exec_lo, s45
	s_cbranch_vccz .LBB4_176
; %bb.175:                              ;   in Loop: Header=BB4_174 Depth=2
	s_mov_b32 s47, -1
	s_or_b32 s43, s43, exec_lo
	s_and_saveexec_b32 s46, s45
	s_cbranch_execz .LBB4_173
	s_branch .LBB4_177
.LBB4_176:                              ;   in Loop: Header=BB4_174 Depth=2
	s_trap 2
	ds_load_b64 v[12:13], v0
	s_and_not1_b32 s45, s45, exec_lo
	s_mov_b32 s44, 0
	s_wait_loadcnt_dscnt 0x0
	flat_load_b32 v11, v[12:13] scope:SCOPE_SYS
	s_wait_loadcnt_dscnt 0x0
	global_inv scope:SCOPE_SYS
	v_cmp_eq_u32_e32 vcc_lo, 0, v11
	s_and_b32 s46, vcc_lo, exec_lo
	s_delay_alu instid0(SALU_CYCLE_1)
	s_or_b32 s45, s45, s46
	s_mov_b32 s47, -1
	s_or_b32 s43, s43, exec_lo
	s_and_saveexec_b32 s46, s45
	s_cbranch_execz .LBB4_173
.LBB4_177:                              ;   in Loop: Header=BB4_174 Depth=2
	s_sleep 1
	s_trap 2
	ds_load_b64 v[12:13], v0
	s_wait_dscnt 0x0
	s_and_not1_b32 s43, s43, exec_lo
	v_cmp_ge_u64_e32 vcc_lo, v[12:13], v[26:27]
	s_or_not1_b32 s47, vcc_lo, exec_lo
	s_branch .LBB4_173
.LBB4_178:                              ;   in Loop: Header=BB4_77 Depth=1
	s_or_b32 exec_lo, exec_lo, s20
	s_and_saveexec_b32 s20, s21
	s_delay_alu instid0(SALU_CYCLE_1)
	s_xor_b32 s20, exec_lo, s20
	s_cbranch_execz .LBB4_180
; %bb.179:                              ;   in Loop: Header=BB4_77 Depth=1
	ds_store_b32 v0, v116
	s_trap 2
.LBB4_180:                              ;   in Loop: Header=BB4_77 Depth=1
	s_or_b32 exec_lo, exec_lo, s19
	;;#ASMSTART
	s_wakeup
	;;#ASMEND
.LBB4_181:                              ;   in Loop: Header=BB4_77 Depth=1
	s_or_b32 exec_lo, exec_lo, s18
.LBB4_182:                              ;   in Loop: Header=BB4_77 Depth=1
	s_and_not1_saveexec_b32 s17, s17
	s_cbranch_execz .LBB4_184
; %bb.183:                              ;   in Loop: Header=BB4_77 Depth=1
	global_wb scope:SCOPE_DEV
	s_wait_storecnt 0x0
	s_wait_loadcnt_dscnt 0x0
	global_inv scope:SCOPE_DEV
	s_barrier_signal -1
	s_barrier_wait -1
.LBB4_184:                              ;   in Loop: Header=BB4_77 Depth=1
	s_or_b32 exec_lo, exec_lo, s17
.LBB4_185:                              ;   in Loop: Header=BB4_77 Depth=1
	s_delay_alu instid0(SALU_CYCLE_1) | instskip(SKIP_3) | instid1(VALU_DEP_1)
	s_or_b32 exec_lo, exec_lo, s16
	s_trap 2
	ds_load_b32 v10, v0
	v_and_b32_e32 v11, 0x4000, v114
	v_cmp_ne_u32_e32 vcc_lo, 0, v11
	s_and_b32 s17, s29, vcc_lo
	s_delay_alu instid0(SALU_CYCLE_1)
	s_and_saveexec_b32 s16, s17
	s_cbranch_execz .LBB4_290
; %bb.186:                              ;   in Loop: Header=BB4_77 Depth=1
	s_and_saveexec_b32 s17, s4
	s_delay_alu instid0(SALU_CYCLE_1)
	s_xor_b32 s17, exec_lo, s17
	s_cbranch_execz .LBB4_287
; %bb.187:                              ;   in Loop: Header=BB4_77 Depth=1
	s_and_saveexec_b32 s18, s7
	s_cbranch_execz .LBB4_286
; %bb.188:                              ;   in Loop: Header=BB4_77 Depth=1
	s_mov_b32 s20, exec_lo
	s_mov_b32 s19, exec_lo
	v_mbcnt_lo_u32_b32 v11, s20, 0
	global_wb scope:SCOPE_DEV
	s_wait_storecnt 0x0
	s_wait_loadcnt_dscnt 0x0
	global_inv scope:SCOPE_DEV
	v_cmpx_eq_u32_e32 0, v11
	s_cbranch_execz .LBB4_190
; %bb.189:                              ;   in Loop: Header=BB4_77 Depth=1
	s_bcnt1_i32_b32 s20, s20
	s_delay_alu instid0(SALU_CYCLE_1)
	v_mov_b32_e32 v34, s20
	s_wait_loadcnt 0x0
	ds_add_u64 v0, v[34:35]
	s_trap 2
.LBB4_190:                              ;   in Loop: Header=BB4_77 Depth=1
	s_or_b32 exec_lo, exec_lo, s19
	s_trap 2
	ds_load_b64 v[12:13], v0
	s_wait_dscnt 0x0
	v_add_nc_u64_e32 v[26:27], v[26:27], v[36:37]
	s_mov_b32 s19, exec_lo
	s_delay_alu instid0(VALU_DEP_1)
	v_cmpx_lt_u64_e64 v[12:13], v[26:27]
	s_cbranch_execz .LBB4_285
; %bb.191:                              ;   in Loop: Header=BB4_77 Depth=1
	s_mov_b32 s20, 0
	s_mov_b32 s45, 0
                                        ; implicit-def: $sgpr21
                                        ; implicit-def: $sgpr44
	s_branch .LBB4_193
.LBB4_192:                              ;   in Loop: Header=BB4_193 Depth=2
	s_or_b32 exec_lo, exec_lo, s47
	s_delay_alu instid0(SALU_CYCLE_1) | instskip(NEXT) | instid1(SALU_CYCLE_1)
	s_and_b32 s46, exec_lo, s56
	s_or_b32 s20, s46, s20
	s_and_not1_b32 s21, s21, exec_lo
	s_and_b32 s46, s44, exec_lo
	s_delay_alu instid0(SALU_CYCLE_1)
	s_or_b32 s21, s21, s46
	s_and_not1_b32 exec_lo, exec_lo, s20
	s_cbranch_execz .LBB4_283
.LBB4_193:                              ;   Parent Loop BB4_77 Depth=1
                                        ; =>  This Inner Loop Header: Depth=2
	s_add_co_i32 s45, s45, 1
	s_delay_alu instid0(SALU_CYCLE_1) | instskip(SKIP_1) | instid1(SALU_CYCLE_1)
	s_cmp_lg_u32 s45, 0x2710
	s_cselect_b32 s46, -1, 0
	s_and_b32 vcc_lo, exec_lo, s46
	s_cbranch_vccz .LBB4_195
; %bb.194:                              ;   in Loop: Header=BB4_193 Depth=2
	s_mov_b32 s56, -1
	s_or_b32 s44, s44, exec_lo
	s_and_saveexec_b32 s47, s46
	s_cbranch_execz .LBB4_192
	s_branch .LBB4_196
.LBB4_195:                              ;   in Loop: Header=BB4_193 Depth=2
	s_trap 2
	ds_load_b64 v[12:13], v0
	s_and_not1_b32 s46, s46, exec_lo
	s_mov_b32 s45, 0
	s_wait_loadcnt_dscnt 0x0
	flat_load_b32 v11, v[12:13] scope:SCOPE_SYS
	s_wait_loadcnt_dscnt 0x0
	global_inv scope:SCOPE_SYS
	v_cmp_eq_u32_e32 vcc_lo, 0, v11
	s_and_b32 s47, vcc_lo, exec_lo
	s_delay_alu instid0(SALU_CYCLE_1)
	s_or_b32 s46, s46, s47
	s_mov_b32 s56, -1
	s_or_b32 s44, s44, exec_lo
	s_and_saveexec_b32 s47, s46
	s_cbranch_execz .LBB4_192
.LBB4_196:                              ;   in Loop: Header=BB4_193 Depth=2
	s_sleep 1
	s_trap 2
	ds_load_b64 v[12:13], v0
	s_wait_dscnt 0x0
	s_and_not1_b32 s44, s44, exec_lo
	v_cmp_ge_u64_e32 vcc_lo, v[12:13], v[26:27]
	s_or_not1_b32 s56, vcc_lo, exec_lo
	s_branch .LBB4_192
.LBB4_197:                              ;   in Loop: Header=BB4_77 Depth=1
	s_or_b32 exec_lo, exec_lo, s20
	s_and_saveexec_b32 s20, s21
	s_delay_alu instid0(SALU_CYCLE_1)
	s_xor_b32 s20, exec_lo, s20
	s_cbranch_execz .LBB4_199
; %bb.198:                              ;   in Loop: Header=BB4_77 Depth=1
	ds_store_b32 v0, v116
	s_trap 2
.LBB4_199:                              ;   in Loop: Header=BB4_77 Depth=1
	s_or_b32 exec_lo, exec_lo, s19
	;;#ASMSTART
	s_wakeup
	;;#ASMEND
.LBB4_200:                              ;   in Loop: Header=BB4_77 Depth=1
	s_or_b32 exec_lo, exec_lo, s18
.LBB4_201:                              ;   in Loop: Header=BB4_77 Depth=1
	s_and_not1_saveexec_b32 s17, s17
	s_cbranch_execz .LBB4_203
; %bb.202:                              ;   in Loop: Header=BB4_77 Depth=1
	global_wb scope:SCOPE_DEV
	s_wait_storecnt 0x0
	s_wait_loadcnt_dscnt 0x0
	global_inv scope:SCOPE_DEV
	s_barrier_signal -1
	s_barrier_wait -1
.LBB4_203:                              ;   in Loop: Header=BB4_77 Depth=1
	s_or_b32 exec_lo, exec_lo, s17
.LBB4_204:                              ;   in Loop: Header=BB4_77 Depth=1
	s_delay_alu instid0(SALU_CYCLE_1)
	s_or_b32 exec_lo, exec_lo, s16
	s_trap 2
	ds_load_b64 v[86:87], v0
	s_wait_dscnt 0x0
	v_cmp_eq_u64_e32 vcc_lo, 0, v[86:87]
	s_cbranch_vccnz .LBB4_271
; %bb.205:                              ;   in Loop: Header=BB4_77 Depth=1
	s_trap 2
	ds_load_b64 v[96:97], v0
	s_wait_dscnt 0x0
	v_cmp_eq_u64_e32 vcc_lo, 0, v[96:97]
	s_cbranch_vccnz .LBB4_271
; %bb.206:                              ;   in Loop: Header=BB4_77 Depth=1
	s_trap 2
	ds_load_b64 v[98:99], v0
	v_cmp_eq_u32_e64 s16, 0, v10
	s_delay_alu instid0(VALU_DEP_1)
	v_cndmask_b32_e64 v34, 0, v84, s16
	s_mov_b32 s16, -1
	s_wait_dscnt 0x0
	v_cmp_ne_u64_e32 vcc_lo, 0, v[98:99]
	s_cbranch_vccz .LBB4_241
; %bb.207:                              ;   in Loop: Header=BB4_77 Depth=1
	s_and_saveexec_b32 s17, s10
	s_cbranch_execz .LBB4_209
; %bb.208:                              ;   in Loop: Header=BB4_77 Depth=1
	ds_load_b32 v10, v0 offset:720
	s_wait_dscnt 0x0
	v_and_b32_e32 v10, 15, v10
	s_delay_alu instid0(VALU_DEP_1)
	v_cmp_eq_u32_e32 vcc_lo, 0, v10
	s_or_not1_b32 s16, vcc_lo, exec_lo
.LBB4_209:                              ;   in Loop: Header=BB4_77 Depth=1
	s_or_b32 exec_lo, exec_lo, s17
	s_and_saveexec_b32 s17, s12
	s_cbranch_execz .LBB4_211
; %bb.210:                              ;   in Loop: Header=BB4_77 Depth=1
	ds_load_b32 v10, v0 offset:784
	s_wait_dscnt 0x0
	v_and_b32_e32 v10, 15, v10
	s_delay_alu instid0(VALU_DEP_1) | instskip(SKIP_3) | instid1(SALU_CYCLE_1)
	v_cmp_eq_u32_e32 vcc_lo, 0, v10
	s_and_b32 s18, s16, vcc_lo
	s_and_not1_b32 s16, s16, exec_lo
	s_and_b32 s18, s18, exec_lo
	s_or_b32 s16, s16, s18
.LBB4_211:                              ;   in Loop: Header=BB4_77 Depth=1
	s_or_b32 exec_lo, exec_lo, s17
	s_xor_b32 s16, s16, -1
	v_dual_mov_b32 v85, 0 :: v_dual_mov_b32 v100, v34
	v_cndmask_b32_e64 v10, 0, 1, s16
	v_mov_b32_e32 v101, v0
	s_mov_b32 s17, -1
	s_delay_alu instid0(VALU_DEP_2)
	v_cmp_ne_u32_e32 vcc_lo, 0, v10
	v_mov_b32_e32 v10, v119
	s_cbranch_vccnz .LBB4_229
; %bb.212:                              ;   in Loop: Header=BB4_77 Depth=1
	v_ashrrev_i32_e32 v10, 31, v34
	v_sub_nc_u32_e32 v85, v34, v38
	s_mov_b32 s19, exec_lo
	s_delay_alu instid0(VALU_DEP_2) | instskip(NEXT) | instid1(VALU_DEP_1)
	v_lshrrev_b32_e32 v10, 23, v10
	v_add_nc_u32_e32 v10, v34, v10
	s_delay_alu instid0(VALU_DEP_1) | instskip(NEXT) | instid1(VALU_DEP_1)
	v_and_b32_e32 v43, 0xfffffe00, v10
	v_dual_ashrrev_i32 v10, 9, v10 :: v_dual_sub_nc_u32 v45, v34, v43
	s_delay_alu instid0(VALU_DEP_1) | instskip(NEXT) | instid1(VALU_DEP_1)
	v_cmp_lt_i32_e64 s16, 15, v45
	v_add_co_ci_u32_e64 v46, null, v10, v41, s16
	v_cmpx_lt_i32_e32 15, v85
	s_cbranch_execz .LBB4_218
; %bb.213:                              ;   in Loop: Header=BB4_77 Depth=1
	v_add_nc_u64_e32 v[100:101], v[86:87], v[38:39]
	v_add_nc_u64_e32 v[102:103], v[96:97], v[38:39]
	;; [unrolled: 1-line block ×3, first 2 shown]
	s_mov_b32 s43, 0
.LBB4_214:                              ;   Parent Loop BB4_77 Depth=1
                                        ; =>  This Loop Header: Depth=2
                                        ;       Child Loop BB4_215 Depth 3
	global_load_b128 v[10:13], v[100:101], off th:TH_LOAD_NT
	s_mov_b64 s[20:21], 0
	s_mov_b32 s44, -1
.LBB4_215:                              ;   Parent Loop BB4_77 Depth=1
                                        ;     Parent Loop BB4_214 Depth=2
                                        ; =>    This Inner Loop Header: Depth=3
	s_cmp_eq_u32 s20, 1
	s_cselect_b32 vcc_lo, -1, 0
	s_cmp_eq_u32 s20, 0
	s_wait_xcnt 0x0
	v_dual_cndmask_b32 v57, v103, v113 :: v_dual_cndmask_b32 v56, v102, v112
	s_cselect_b32 s17, -1, 0
	s_and_b32 s18, exec_lo, s44
	s_mov_b64 s[20:21], 1
	s_mov_b32 s44, 0
	v_add_nc_u64_e32 v[58:59], 0x200, v[56:57]
	s_wait_loadcnt 0x0
	global_store_b128 v[56:57], v[10:13], off th:TH_STORE_NT
	v_dual_cndmask_b32 v113, v113, v59 :: v_dual_cndmask_b32 v112, v112, v58
	v_dual_cndmask_b32 v103, v103, v59, s17 :: v_dual_cndmask_b32 v102, v102, v58, s17
	s_mov_b32 vcc_lo, s18
	s_cbranch_vccnz .LBB4_215
; %bb.216:                              ;   in Loop: Header=BB4_214 Depth=2
	v_dual_sub_nc_u32 v85, v85, v118 :: v_dual_sub_nc_u32 v46, v46, v36
	s_delay_alu instid0(VALU_DEP_2)
	v_add_nc_u64_e32 v[102:103], v[102:103], v[68:69]
	v_add_nc_u64_e32 v[112:113], v[112:113], v[68:69]
	s_wait_xcnt 0x1
	v_add_nc_u64_e32 v[100:101], v[80:81], v[100:101]
	v_cmp_gt_i32_e32 vcc_lo, 16, v85
	s_or_b32 s43, vcc_lo, s43
	s_wait_xcnt 0x0
	s_and_not1_b32 exec_lo, exec_lo, s43
	s_cbranch_execnz .LBB4_214
; %bb.217:                              ;   in Loop: Header=BB4_77 Depth=1
	s_or_b32 exec_lo, exec_lo, s43
.LBB4_218:                              ;   in Loop: Header=BB4_77 Depth=1
	s_delay_alu instid0(SALU_CYCLE_1) | instskip(SKIP_3) | instid1(VALU_DEP_1)
	s_or_b32 exec_lo, exec_lo, s19
	v_dual_mov_b32 v85, 0 :: v_dual_bitop2_b32 v11, 15, v34 bitop3:0x40
	s_mov_b32 s17, 0
	s_mov_b32 s19, exec_lo
                                        ; implicit-def: $vgpr100
                                        ; implicit-def: $vgpr101
                                        ; implicit-def: $vgpr10
	v_cndmask_b32_e64 v44, v45, v11, s16
	s_delay_alu instid0(VALU_DEP_1)
	v_cmpx_ne_u32_e32 0, v44
	s_cbranch_execz .LBB4_228
; %bb.219:                              ;   in Loop: Header=BB4_77 Depth=1
	v_cmp_lt_i32_e32 vcc_lo, 0, v46
	v_ashrrev_i32_e32 v13, 31, v44
	s_mov_b32 s43, exec_lo
	v_dual_cndmask_b32 v10, 0, v36 :: v_dual_sub_nc_u32 v11, v45, v11
	s_delay_alu instid0(VALU_DEP_1) | instskip(NEXT) | instid1(VALU_DEP_1)
	v_dual_lshrrev_b32 v13, 23, v13 :: v_dual_sub_nc_u32 v10, v10, v46
	v_add_nc_u32_e32 v13, v44, v13
	s_delay_alu instid0(VALU_DEP_2) | instskip(NEXT) | instid1(VALU_DEP_2)
	v_lshl_add_u32 v10, v10, 5, v40
	v_and_b32_e32 v46, 0xfffffe00, v13
	s_delay_alu instid0(VALU_DEP_2) | instskip(NEXT) | instid1(VALU_DEP_1)
	v_dual_ashrrev_i32 v13, 9, v13 :: v_dual_ashrrev_i32 v12, 31, v10
	v_dual_sub_nc_u32 v45, v44, v46 :: v_dual_lshrrev_b32 v12, 27, v12
	s_delay_alu instid0(VALU_DEP_1) | instskip(NEXT) | instid1(VALU_DEP_1)
	v_add_nc_u32_e32 v12, v10, v12
	v_and_b32_e32 v85, 0xffffffe0, v12
	s_delay_alu instid0(VALU_DEP_1) | instskip(NEXT) | instid1(VALU_DEP_1)
	v_sub_nc_u32_e32 v47, v10, v85
	v_dual_lshlrev_b32 v10, 4, v47 :: v_dual_ashrrev_i32 v12, 5, v12
	s_delay_alu instid0(VALU_DEP_1) | instskip(SKIP_2) | instid1(VALU_DEP_3)
	v_lshl_add_u32 v10, v12, 9, v10
	v_cndmask_b32_e64 v11, 0, v11, s16
	v_cmp_lt_i32_e64 s16, 15, v45
	v_sub_nc_u32_e32 v85, v44, v10
	s_delay_alu instid0(VALU_DEP_2) | instskip(NEXT) | instid1(VALU_DEP_1)
	v_add_co_ci_u32_e64 v13, null, 0, v13, s16
	v_dual_add_nc_u32 v43, v11, v43 :: v_dual_sub_nc_u32 v56, v13, v12
	s_delay_alu instid0(VALU_DEP_3)
	v_cmpx_lt_i32_e32 15, v85
	s_cbranch_execz .LBB4_225
; %bb.220:                              ;   in Loop: Header=BB4_77 Depth=1
	s_delay_alu instid0(VALU_DEP_2) | instskip(SKIP_1) | instid1(VALU_DEP_1)
	v_add_nc_u32_e32 v10, v10, v43
	s_mov_b32 s44, 0
	v_ashrrev_i32_e32 v11, 31, v10
	s_delay_alu instid0(VALU_DEP_1)
	v_add_nc_u64_e32 v[100:101], v[10:11], v[86:87]
	v_add_nc_u64_e32 v[102:103], v[10:11], v[96:97]
	;; [unrolled: 1-line block ×3, first 2 shown]
.LBB4_221:                              ;   Parent Loop BB4_77 Depth=1
                                        ; =>  This Loop Header: Depth=2
                                        ;       Child Loop BB4_222 Depth 3
	global_load_b128 v[10:13], v[100:101], off th:TH_LOAD_NT
	s_mov_b64 s[20:21], 0
	s_mov_b32 s45, -1
.LBB4_222:                              ;   Parent Loop BB4_77 Depth=1
                                        ;     Parent Loop BB4_221 Depth=2
                                        ; =>    This Inner Loop Header: Depth=3
	s_cmp_eq_u32 s20, 1
	s_cselect_b32 vcc_lo, -1, 0
	s_cmp_eq_u32 s20, 0
	s_wait_xcnt 0x0
	v_dual_cndmask_b32 v59, v103, v113 :: v_dual_cndmask_b32 v58, v102, v112
	s_cselect_b32 s17, -1, 0
	s_and_b32 s18, exec_lo, s45
	s_mov_b64 s[20:21], 1
	s_mov_b32 s45, 0
	v_add_nc_u64_e32 v[60:61], 0x200, v[58:59]
	s_wait_loadcnt 0x0
	global_store_b128 v[58:59], v[10:13], off th:TH_STORE_NT
	v_dual_cndmask_b32 v113, v113, v61 :: v_dual_cndmask_b32 v112, v112, v60
	v_dual_cndmask_b32 v103, v103, v61, s17 :: v_dual_cndmask_b32 v102, v102, v60, s17
	s_mov_b32 vcc_lo, s18
	s_cbranch_vccnz .LBB4_222
; %bb.223:                              ;   in Loop: Header=BB4_221 Depth=2
	v_dual_sub_nc_u32 v85, v85, v118 :: v_dual_sub_nc_u32 v56, v56, v36
	s_delay_alu instid0(VALU_DEP_2)
	v_add_nc_u64_e32 v[102:103], v[102:103], v[68:69]
	v_add_nc_u64_e32 v[112:113], v[112:113], v[68:69]
	s_wait_xcnt 0x1
	v_add_nc_u64_e32 v[100:101], v[80:81], v[100:101]
	v_cmp_gt_i32_e32 vcc_lo, 16, v85
	s_or_b32 s44, vcc_lo, s44
	s_wait_xcnt 0x0
	s_and_not1_b32 exec_lo, exec_lo, s44
	s_cbranch_execnz .LBB4_221
; %bb.224:                              ;   in Loop: Header=BB4_77 Depth=1
	s_or_b32 exec_lo, exec_lo, s44
.LBB4_225:                              ;   in Loop: Header=BB4_77 Depth=1
	s_delay_alu instid0(SALU_CYCLE_1) | instskip(SKIP_3) | instid1(VALU_DEP_1)
	s_or_b32 exec_lo, exec_lo, s43
	v_dual_mov_b32 v85, 0 :: v_dual_bitop2_b32 v11, 15, v44 bitop3:0x40
	s_mov_b32 s17, 0
	s_mov_b32 s18, exec_lo
                                        ; implicit-def: $vgpr101
                                        ; implicit-def: $vgpr10
	v_cndmask_b32_e64 v100, v45, v11, s16
	s_delay_alu instid0(VALU_DEP_1)
	v_cmpx_ne_u32_e32 0, v100
	s_cbranch_execz .LBB4_227
; %bb.226:                              ;   in Loop: Header=BB4_77 Depth=1
	v_cmp_lt_i32_e32 vcc_lo, 0, v56
	s_mov_b32 s17, exec_lo
	v_dual_cndmask_b32 v10, 0, v36 :: v_dual_sub_nc_u32 v11, v45, v11
	s_delay_alu instid0(VALU_DEP_1) | instskip(NEXT) | instid1(VALU_DEP_1)
	v_dual_cndmask_b32 v11, 0, v11, s16 :: v_dual_sub_nc_u32 v10, v10, v56
	v_add3_u32 v85, v46, v43, v11
	s_delay_alu instid0(VALU_DEP_2) | instskip(NEXT) | instid1(VALU_DEP_1)
	v_lshl_add_u32 v101, v10, 5, v47
	v_ashrrev_i32_e32 v10, 31, v101
	s_delay_alu instid0(VALU_DEP_1) | instskip(NEXT) | instid1(VALU_DEP_1)
	v_lshrrev_b32_e32 v10, 27, v10
	v_add_nc_u32_e32 v10, v101, v10
	s_delay_alu instid0(VALU_DEP_1)
	v_ashrrev_i32_e32 v10, 5, v10
.LBB4_227:                              ;   in Loop: Header=BB4_77 Depth=1
	s_or_b32 exec_lo, exec_lo, s18
	s_delay_alu instid0(SALU_CYCLE_1)
	s_and_b32 s17, s17, exec_lo
.LBB4_228:                              ;   in Loop: Header=BB4_77 Depth=1
	s_or_b32 exec_lo, exec_lo, s19
.LBB4_229:                              ;   in Loop: Header=BB4_77 Depth=1
	s_and_saveexec_b32 s20, s17
	s_cbranch_execz .LBB4_240
; %bb.230:                              ;   in Loop: Header=BB4_77 Depth=1
	v_ashrrev_i32_e32 v11, 31, v100
	s_mov_b32 s16, exec_lo
	s_delay_alu instid0(VALU_DEP_1) | instskip(NEXT) | instid1(VALU_DEP_1)
	v_lshrrev_b32_e32 v11, 24, v11
	v_add_nc_u32_e32 v11, v100, v11
	s_delay_alu instid0(VALU_DEP_1) | instskip(NEXT) | instid1(VALU_DEP_1)
	v_dual_ashrrev_i32 v112, 8, v11 :: v_dual_ashrrev_i32 v11, 31, v101
	v_dual_sub_nc_u32 v102, v112, v10 :: v_dual_lshrrev_b32 v103, 27, v11
	s_delay_alu instid0(VALU_DEP_1)
	v_cmpx_lt_i32_e32 0, v102
	s_cbranch_execz .LBB4_234
; %bb.231:                              ;   in Loop: Header=BB4_77 Depth=1
	s_delay_alu instid0(VALU_DEP_2) | instskip(SKIP_2) | instid1(VALU_DEP_2)
	v_dual_add_nc_u32 v11, v101, v103 :: v_dual_lshlrev_b32 v10, 8, v10
	v_add_nc_u64_e32 v[46:47], 0xe0, v[86:87]
	s_mov_b32 s17, 0
	v_and_b32_e32 v11, 0xffffffe0, v11
	s_delay_alu instid0(VALU_DEP_1) | instskip(NEXT) | instid1(VALU_DEP_1)
	v_sub_nc_u32_e32 v11, v101, v11
	v_add3_u32 v44, v85, v11, v10
	s_delay_alu instid0(VALU_DEP_1) | instskip(NEXT) | instid1(VALU_DEP_1)
	v_ashrrev_i32_e32 v45, 31, v44
	v_add_nc_u64_e32 v[10:11], v[44:45], v[96:97]
	v_add_nc_u64_e32 v[12:13], v[44:45], v[98:99]
	v_add_nc_u64_e32 v[98:99], v[46:47], v[44:45]
.LBB4_232:                              ;   Parent Loop BB4_77 Depth=1
                                        ; =>  This Inner Loop Header: Depth=2
	s_clause 0x7
	flat_load_u8 v113, v[98:99] offset:-224 th:TH_LOAD_NT
	flat_load_u8 v43, v[98:99] offset:-192 th:TH_LOAD_NT
	;; [unrolled: 1-line block ×7, first 2 shown]
	flat_load_u8 v57, v[98:99] th:TH_LOAD_NT
	v_sub_nc_u32_e32 v102, v102, v36
	s_wait_xcnt 0x0
	v_add_nc_u64_e32 v[98:99], v[98:99], v[54:55]
	s_wait_loadcnt_dscnt 0x707
	flat_store_b8 v[10:11], v113 th:TH_STORE_NT
	s_wait_loadcnt_dscnt 0x607
	flat_store_b8 v[10:11], v43 offset:32 th:TH_STORE_NT
	s_wait_loadcnt_dscnt 0x507
	flat_store_b8 v[10:11], v44 offset:64 th:TH_STORE_NT
	;; [unrolled: 2-line block ×7, first 2 shown]
	s_clause 0x7
	flat_store_b8 v[12:13], v113 th:TH_STORE_NT
	flat_store_b8 v[12:13], v43 offset:32 th:TH_STORE_NT
	flat_store_b8 v[12:13], v44 offset:64 th:TH_STORE_NT
	;; [unrolled: 1-line block ×7, first 2 shown]
	v_cmp_gt_i32_e32 vcc_lo, 1, v102
	s_wait_xcnt 0x8
	v_add_nc_u64_e32 v[10:11], v[10:11], v[54:55]
	s_wait_xcnt 0x0
	v_add_nc_u64_e32 v[12:13], v[12:13], v[54:55]
	s_or_b32 s17, vcc_lo, s17
	s_delay_alu instid0(SALU_CYCLE_1)
	s_and_not1_b32 exec_lo, exec_lo, s17
	s_cbranch_execnz .LBB4_232
; %bb.233:                              ;   in Loop: Header=BB4_77 Depth=1
	s_or_b32 exec_lo, exec_lo, s17
.LBB4_234:                              ;   in Loop: Header=BB4_77 Depth=1
	s_delay_alu instid0(SALU_CYCLE_1) | instskip(SKIP_1) | instid1(VALU_DEP_1)
	s_or_b32 exec_lo, exec_lo, s16
	v_lshlrev_b32_e32 v10, 8, v112
	v_cmp_ne_u32_e32 vcc_lo, v100, v10
	s_and_b32 exec_lo, exec_lo, vcc_lo
	s_cbranch_execz .LBB4_240
; %bb.235:                              ;   in Loop: Header=BB4_77 Depth=1
	v_dual_add_nc_u32 v11, v101, v103 :: v_dual_lshlrev_b32 v12, 5, v102
	s_delay_alu instid0(VALU_DEP_1) | instskip(NEXT) | instid1(VALU_DEP_1)
	v_and_b32_e32 v11, 0xffffffe0, v11
	v_sub_nc_u32_e32 v11, v101, v11
	s_delay_alu instid0(VALU_DEP_1) | instskip(NEXT) | instid1(VALU_DEP_1)
	v_sub_nc_u32_e32 v11, v11, v12
	v_add_nc_u32_e32 v10, v10, v11
	s_delay_alu instid0(VALU_DEP_1) | instskip(NEXT) | instid1(VALU_DEP_1)
	v_sub_nc_u32_e32 v100, v100, v10
	v_cmp_lt_i32_e32 vcc_lo, 0, v100
	s_and_b32 exec_lo, exec_lo, vcc_lo
	s_cbranch_execz .LBB4_240
; %bb.236:                              ;   in Loop: Header=BB4_77 Depth=1
	s_trap 2
	ds_load_b64 v[12:13], v0
	ds_load_b128 v[44:47], v0
	v_add_nc_u32_e32 v98, v10, v85
	s_mov_b32 s21, 0
	s_delay_alu instid0(VALU_DEP_1) | instskip(SKIP_1) | instid1(VALU_DEP_1)
	v_ashrrev_i32_e32 v99, 31, v98
	s_wait_dscnt 0x1
	v_add_nc_u64_e32 v[10:11], v[12:13], v[98:99]
	s_wait_dscnt 0x0
	v_add_nc_u64_e32 v[12:13], v[44:45], v[98:99]
	v_add_nc_u64_e32 v[98:99], v[46:47], v[98:99]
.LBB4_237:                              ;   Parent Loop BB4_77 Depth=1
                                        ; =>  This Loop Header: Depth=2
                                        ;       Child Loop BB4_238 Depth 3
	flat_load_u8 v85, v[10:11] th:TH_LOAD_NT
	s_mov_b64 s[18:19], 0
	s_mov_b32 s43, -1
.LBB4_238:                              ;   Parent Loop BB4_77 Depth=1
                                        ;     Parent Loop BB4_237 Depth=2
                                        ; =>    This Inner Loop Header: Depth=3
	s_cmp_eq_u32 s18, 1
	s_cselect_b32 vcc_lo, -1, 0
	s_cmp_eq_u32 s18, 0
	s_wait_xcnt 0x0
	v_dual_cndmask_b32 v103, v13, v99 :: v_dual_cndmask_b32 v102, v12, v98
	s_cselect_b32 s16, -1, 0
	s_and_b32 s17, exec_lo, s43
	s_mov_b64 s[18:19], 1
	s_mov_b32 s43, 0
	v_add_nc_u64_e32 v[112:113], 32, v[102:103]
	s_wait_loadcnt_dscnt 0x0
	flat_store_b8 v[102:103], v85 th:TH_STORE_NT
	v_dual_cndmask_b32 v99, v99, v113 :: v_dual_cndmask_b32 v98, v98, v112
	v_dual_cndmask_b32 v13, v13, v113, s16 :: v_dual_cndmask_b32 v12, v12, v112, s16
	s_mov_b32 vcc_lo, s17
	s_cbranch_vccnz .LBB4_238
; %bb.239:                              ;   in Loop: Header=BB4_237 Depth=2
	v_sub_nc_u32_e32 v100, v100, v1
	s_delay_alu instid0(VALU_DEP_2)
	v_add_nc_u64_e32 v[12:13], v[12:13], v[64:65]
	v_add_nc_u64_e32 v[98:99], v[98:99], v[64:65]
	s_wait_xcnt 0x1
	v_add_nc_u64_e32 v[10:11], v[70:71], v[10:11]
	v_cmp_gt_i32_e32 vcc_lo, 1, v100
	s_or_b32 s21, vcc_lo, s21
	s_wait_xcnt 0x0
	s_and_not1_b32 exec_lo, exec_lo, s21
	s_cbranch_execnz .LBB4_237
.LBB4_240:                              ;   in Loop: Header=BB4_77 Depth=1
	s_or_b32 exec_lo, exec_lo, s20
	s_mov_b32 s16, 0
.LBB4_241:                              ;   in Loop: Header=BB4_77 Depth=1
	s_delay_alu instid0(SALU_CYCLE_1)
	s_and_b32 vcc_lo, exec_lo, s16
	s_cbranch_vccz .LBB4_270
; %bb.242:                              ;   in Loop: Header=BB4_77 Depth=1
	s_mov_b32 s16, -1
	s_and_saveexec_b32 s17, s10
	s_cbranch_execz .LBB4_244
; %bb.243:                              ;   in Loop: Header=BB4_77 Depth=1
	ds_load_b32 v10, v0 offset:720
	s_wait_dscnt 0x0
	v_and_b32_e32 v10, 15, v10
	s_delay_alu instid0(VALU_DEP_1)
	v_cmp_eq_u32_e32 vcc_lo, 0, v10
	s_or_not1_b32 s16, vcc_lo, exec_lo
.LBB4_244:                              ;   in Loop: Header=BB4_77 Depth=1
	s_or_b32 exec_lo, exec_lo, s17
	s_and_saveexec_b32 s17, s13
	s_cbranch_execz .LBB4_246
; %bb.245:                              ;   in Loop: Header=BB4_77 Depth=1
	ds_load_b32 v10, v0 offset:784
	s_wait_dscnt 0x0
	v_and_b32_e32 v10, 15, v10
	s_delay_alu instid0(VALU_DEP_1) | instskip(SKIP_3) | instid1(SALU_CYCLE_1)
	v_cmp_eq_u32_e32 vcc_lo, 0, v10
	s_and_b32 s18, s16, vcc_lo
	s_and_not1_b32 s16, s16, exec_lo
	s_and_b32 s18, s18, exec_lo
	s_or_b32 s16, s16, s18
.LBB4_246:                              ;   in Loop: Header=BB4_77 Depth=1
	s_or_b32 exec_lo, exec_lo, s17
	s_xor_b32 s16, s16, -1
	v_dual_mov_b32 v12, 0 :: v_dual_mov_b32 v13, v34
	v_cndmask_b32_e64 v10, 0, 1, s16
	v_mov_b32_e32 v85, v0
	s_mov_b32 s18, -1
	s_delay_alu instid0(VALU_DEP_2)
	v_cmp_ne_u32_e32 vcc_lo, 0, v10
	v_mov_b32_e32 v10, v119
	s_cbranch_vccnz .LBB4_260
; %bb.247:                              ;   in Loop: Header=BB4_77 Depth=1
	v_ashrrev_i32_e32 v10, 31, v34
	s_mov_b32 s16, exec_lo
	s_delay_alu instid0(VALU_DEP_1) | instskip(NEXT) | instid1(VALU_DEP_1)
	v_lshrrev_b32_e32 v10, 22, v10
	v_add_nc_u32_e32 v10, v34, v10
	s_delay_alu instid0(VALU_DEP_1) | instskip(NEXT) | instid1(VALU_DEP_1)
	v_ashrrev_i32_e32 v12, 10, v10
	v_sub_nc_u32_e32 v99, v12, v119
	s_delay_alu instid0(VALU_DEP_1)
	v_cmpx_lt_i32_e32 0, v99
	s_cbranch_execz .LBB4_251
; %bb.248:                              ;   in Loop: Header=BB4_77 Depth=1
	v_mov_b64_e32 v[10:11], v[82:83]
	s_mov_b32 s17, 0
.LBB4_249:                              ;   Parent Loop BB4_77 Depth=1
                                        ; =>  This Inner Loop Header: Depth=2
	s_delay_alu instid0(VALU_DEP_1)
	v_add_nc_u64_e32 v[112:113], v[86:87], v[10:11]
	v_sub_nc_u32_e32 v99, v99, v36
	s_clause 0x1
	global_load_b128 v[100:103], v[112:113], off th:TH_LOAD_NT
	global_load_b128 v[44:47], v[112:113], off offset:512 th:TH_LOAD_NT
	s_wait_xcnt 0x0
	v_add_nc_u64_e32 v[112:113], v[96:97], v[10:11]
	v_cmp_gt_i32_e32 vcc_lo, 1, v99
	v_add_nc_u64_e32 v[10:11], v[10:11], v[66:67]
	s_wait_loadcnt 0x1
	global_store_b128 v[112:113], v[100:103], off th:TH_STORE_NT
	s_wait_loadcnt 0x0
	global_store_b128 v[112:113], v[44:47], off offset:512 th:TH_STORE_NT
	s_or_b32 s17, vcc_lo, s17
	s_wait_xcnt 0x0
	s_and_not1_b32 exec_lo, exec_lo, s17
	s_cbranch_execnz .LBB4_249
; %bb.250:                              ;   in Loop: Header=BB4_77 Depth=1
	s_or_b32 exec_lo, exec_lo, s17
.LBB4_251:                              ;   in Loop: Header=BB4_77 Depth=1
	s_delay_alu instid0(SALU_CYCLE_1) | instskip(SKIP_3) | instid1(VALU_DEP_1)
	s_or_b32 exec_lo, exec_lo, s16
	v_dual_lshlrev_b32 v98, 10, v12 :: v_dual_mov_b32 v12, 0
	s_mov_b32 s18, 0
	s_mov_b32 s17, exec_lo
                                        ; implicit-def: $vgpr13
                                        ; implicit-def: $vgpr85
                                        ; implicit-def: $vgpr10
	v_cmpx_ne_u32_e64 v34, v98
	s_cbranch_execz .LBB4_259
; %bb.252:                              ;   in Loop: Header=BB4_77 Depth=1
	v_dual_lshlrev_b32 v10, 5, v99 :: v_dual_sub_nc_u32 v12, v34, v98
	s_mov_b32 s18, exec_lo
	s_delay_alu instid0(VALU_DEP_1) | instskip(NEXT) | instid1(VALU_DEP_1)
	v_dual_sub_nc_u32 v10, v40, v10 :: v_dual_ashrrev_i32 v13, 31, v12
	v_dual_ashrrev_i32 v11, 31, v10 :: v_dual_lshrrev_b32 v13, 23, v13
	s_delay_alu instid0(VALU_DEP_1) | instskip(NEXT) | instid1(VALU_DEP_1)
	v_lshrrev_b32_e32 v11, 27, v11
	v_dual_add_nc_u32 v11, v10, v11 :: v_dual_add_nc_u32 v13, v12, v13
	s_delay_alu instid0(VALU_DEP_1) | instskip(SKIP_1) | instid1(VALU_DEP_3)
	v_and_b32_e32 v85, 0xffffffe0, v11
	v_ashrrev_i32_e32 v11, 5, v11
	v_and_b32_e32 v99, 0xfffffe00, v13
	v_ashrrev_i32_e32 v13, 9, v13
	s_delay_alu instid0(VALU_DEP_2) | instskip(NEXT) | instid1(VALU_DEP_1)
	v_dual_sub_nc_u32 v100, v10, v85 :: v_dual_sub_nc_u32 v101, v12, v99
	v_lshlrev_b32_e32 v10, 4, v100
	s_delay_alu instid0(VALU_DEP_2) | instskip(NEXT) | instid1(VALU_DEP_2)
	v_cmp_lt_i32_e32 vcc_lo, 15, v101
	v_lshl_add_u32 v10, v11, 9, v10
	v_add_co_ci_u32_e64 v13, null, 0, v13, vcc_lo
	s_delay_alu instid0(VALU_DEP_1) | instskip(NEXT) | instid1(VALU_DEP_1)
	v_dual_sub_nc_u32 v12, v12, v10 :: v_dual_sub_nc_u32 v102, v13, v11
	v_cmpx_lt_i32_e32 15, v12
	s_cbranch_execz .LBB4_256
; %bb.253:                              ;   in Loop: Header=BB4_77 Depth=1
	v_add_nc_u32_e32 v10, v10, v98
	s_mov_b32 s19, 0
	s_delay_alu instid0(VALU_DEP_1)
	v_ashrrev_i32_e32 v11, 31, v10
.LBB4_254:                              ;   Parent Loop BB4_77 Depth=1
                                        ; =>  This Inner Loop Header: Depth=2
	s_delay_alu instid0(VALU_DEP_1) | instskip(SKIP_1) | instid1(VALU_DEP_1)
	v_add_nc_u64_e32 v[112:113], v[86:87], v[10:11]
	v_dual_sub_nc_u32 v12, v12, v118 :: v_dual_sub_nc_u32 v102, v102, v36
	v_cmp_gt_i32_e64 s16, 16, v12
	global_load_b128 v[44:47], v[112:113], off th:TH_LOAD_NT
	s_wait_xcnt 0x0
	v_add_nc_u64_e32 v[112:113], v[96:97], v[10:11]
	v_add_nc_u64_e32 v[10:11], v[10:11], v[80:81]
	s_or_b32 s19, s16, s19
	s_wait_loadcnt 0x0
	global_store_b128 v[112:113], v[44:47], off th:TH_STORE_NT
	s_wait_xcnt 0x0
	s_and_not1_b32 exec_lo, exec_lo, s19
	s_cbranch_execnz .LBB4_254
; %bb.255:                              ;   in Loop: Header=BB4_77 Depth=1
	s_or_b32 exec_lo, exec_lo, s19
.LBB4_256:                              ;   in Loop: Header=BB4_77 Depth=1
	s_delay_alu instid0(SALU_CYCLE_1) | instskip(SKIP_3) | instid1(VALU_DEP_1)
	s_or_b32 exec_lo, exec_lo, s18
	v_dual_mov_b32 v12, 0 :: v_dual_bitop2_b32 v11, 15, v34 bitop3:0x40
	s_mov_b32 s18, 0
	s_mov_b32 s19, exec_lo
                                        ; implicit-def: $vgpr85
                                        ; implicit-def: $vgpr10
	v_cndmask_b32_e32 v13, v101, v11, vcc_lo
	s_delay_alu instid0(VALU_DEP_1)
	v_cmpx_ne_u32_e32 0, v13
	s_cbranch_execz .LBB4_258
; %bb.257:                              ;   in Loop: Header=BB4_77 Depth=1
	v_cmp_lt_i32_e64 s16, 0, v102
	s_mov_b32 s18, exec_lo
	v_dual_sub_nc_u32 v11, v101, v11 :: v_dual_cndmask_b32 v10, 0, v36, s16
	s_delay_alu instid0(VALU_DEP_1) | instskip(NEXT) | instid1(VALU_DEP_1)
	v_dual_cndmask_b32 v11, 0, v11 :: v_dual_sub_nc_u32 v10, v10, v102
	v_add3_u32 v12, v99, v98, v11
	s_delay_alu instid0(VALU_DEP_2) | instskip(NEXT) | instid1(VALU_DEP_1)
	v_lshl_add_u32 v85, v10, 5, v100
	v_ashrrev_i32_e32 v10, 31, v85
	s_delay_alu instid0(VALU_DEP_1) | instskip(NEXT) | instid1(VALU_DEP_1)
	v_lshrrev_b32_e32 v10, 27, v10
	v_add_nc_u32_e32 v10, v85, v10
	s_delay_alu instid0(VALU_DEP_1)
	v_ashrrev_i32_e32 v10, 5, v10
.LBB4_258:                              ;   in Loop: Header=BB4_77 Depth=1
	s_or_b32 exec_lo, exec_lo, s19
	s_delay_alu instid0(SALU_CYCLE_1)
	s_and_b32 s18, s18, exec_lo
.LBB4_259:                              ;   in Loop: Header=BB4_77 Depth=1
	s_or_b32 exec_lo, exec_lo, s17
.LBB4_260:                              ;   in Loop: Header=BB4_77 Depth=1
	s_and_saveexec_b32 s16, s18
	s_cbranch_execz .LBB4_269
; %bb.261:                              ;   in Loop: Header=BB4_77 Depth=1
	v_ashrrev_i32_e32 v11, 31, v13
	s_mov_b32 s17, exec_lo
	s_delay_alu instid0(VALU_DEP_1) | instskip(NEXT) | instid1(VALU_DEP_1)
	v_lshrrev_b32_e32 v11, 24, v11
	v_add_nc_u32_e32 v11, v13, v11
	s_delay_alu instid0(VALU_DEP_1) | instskip(NEXT) | instid1(VALU_DEP_1)
	v_dual_ashrrev_i32 v100, 8, v11 :: v_dual_ashrrev_i32 v11, 31, v85
	v_dual_sub_nc_u32 v98, v100, v10 :: v_dual_lshrrev_b32 v99, 27, v11
	s_delay_alu instid0(VALU_DEP_1)
	v_cmpx_lt_i32_e32 0, v98
	s_cbranch_execz .LBB4_265
; %bb.262:                              ;   in Loop: Header=BB4_77 Depth=1
	s_delay_alu instid0(VALU_DEP_2) | instskip(SKIP_1) | instid1(VALU_DEP_1)
	v_dual_add_nc_u32 v11, v85, v99 :: v_dual_lshlrev_b32 v10, 8, v10
	s_mov_b32 s18, 0
	v_and_b32_e32 v11, 0xffffffe0, v11
	s_delay_alu instid0(VALU_DEP_1) | instskip(NEXT) | instid1(VALU_DEP_1)
	v_sub_nc_u32_e32 v11, v85, v11
	v_add3_u32 v10, v12, v11, v10
	s_delay_alu instid0(VALU_DEP_1)
	v_ashrrev_i32_e32 v11, 31, v10
.LBB4_263:                              ;   Parent Loop BB4_77 Depth=1
                                        ; =>  This Inner Loop Header: Depth=2
	s_delay_alu instid0(VALU_DEP_1)
	v_add_nc_u64_e32 v[102:103], v[10:11], v[86:87]
	v_sub_nc_u32_e32 v98, v98, v36
	v_add_nc_u64_e32 v[86:87], v[86:87], v[54:55]
	s_clause 0x7
	flat_load_u8 v101, v[102:103] th:TH_LOAD_NT
	flat_load_u8 v112, v[102:103] offset:32 th:TH_LOAD_NT
	flat_load_u8 v113, v[102:103] offset:64 th:TH_LOAD_NT
	;; [unrolled: 1-line block ×7, first 2 shown]
	s_wait_xcnt 0x0
	v_add_nc_u64_e32 v[102:103], v[10:11], v[96:97]
	v_add_nc_u64_e32 v[96:97], v[96:97], v[54:55]
	v_cmp_gt_i32_e32 vcc_lo, 1, v98
	s_wait_loadcnt_dscnt 0x707
	flat_store_b8 v[102:103], v101 th:TH_STORE_NT
	s_wait_loadcnt_dscnt 0x607
	flat_store_b8 v[102:103], v112 offset:32 th:TH_STORE_NT
	s_wait_loadcnt_dscnt 0x507
	flat_store_b8 v[102:103], v113 offset:64 th:TH_STORE_NT
	;; [unrolled: 2-line block ×7, first 2 shown]
	s_or_b32 s18, vcc_lo, s18
	s_wait_xcnt 0x0
	s_and_not1_b32 exec_lo, exec_lo, s18
	s_cbranch_execnz .LBB4_263
; %bb.264:                              ;   in Loop: Header=BB4_77 Depth=1
	s_or_b32 exec_lo, exec_lo, s18
.LBB4_265:                              ;   in Loop: Header=BB4_77 Depth=1
	s_delay_alu instid0(SALU_CYCLE_1) | instskip(SKIP_1) | instid1(VALU_DEP_1)
	s_or_b32 exec_lo, exec_lo, s17
	v_lshlrev_b32_e32 v10, 8, v100
	v_cmp_ne_u32_e32 vcc_lo, v13, v10
	s_and_b32 exec_lo, exec_lo, vcc_lo
	s_cbranch_execz .LBB4_269
; %bb.266:                              ;   in Loop: Header=BB4_77 Depth=1
	v_add_nc_u32_e32 v11, v85, v99
	s_delay_alu instid0(VALU_DEP_1) | instskip(NEXT) | instid1(VALU_DEP_1)
	v_and_b32_e32 v11, 0xffffffe0, v11
	v_dual_sub_nc_u32 v11, v85, v11 :: v_dual_lshlrev_b32 v85, 5, v98
	s_delay_alu instid0(VALU_DEP_1) | instskip(NEXT) | instid1(VALU_DEP_1)
	v_sub_nc_u32_e32 v11, v11, v85
	v_add_nc_u32_e32 v86, v10, v11
	s_delay_alu instid0(VALU_DEP_1) | instskip(NEXT) | instid1(VALU_DEP_1)
	v_sub_nc_u32_e32 v85, v13, v86
	v_cmp_lt_i32_e32 vcc_lo, 0, v85
	s_and_b32 exec_lo, exec_lo, vcc_lo
	s_cbranch_execz .LBB4_269
; %bb.267:                              ;   in Loop: Header=BB4_77 Depth=1
	s_trap 2
	ds_load_b64 v[10:11], v0
	v_add_nc_u32_e32 v12, v86, v12
	s_mov_b32 s17, 0
	s_delay_alu instid0(VALU_DEP_1)
	v_ashrrev_i32_e32 v13, 31, v12
.LBB4_268:                              ;   Parent Loop BB4_77 Depth=1
                                        ; =>  This Inner Loop Header: Depth=2
	s_wait_dscnt 0x0
	s_delay_alu instid0(VALU_DEP_1) | instskip(SKIP_2) | instid1(VALU_DEP_2)
	v_add_nc_u64_e32 v[86:87], v[10:11], v[12:13]
	v_sub_nc_u32_e32 v85, v85, v1
	v_add_nc_u64_e32 v[12:13], v[12:13], v[70:71]
	v_cmp_gt_i32_e32 vcc_lo, 1, v85
	flat_load_u8 v96, v[86:87] th:TH_LOAD_NT
	s_or_b32 s17, vcc_lo, s17
	s_wait_loadcnt_dscnt 0x0
	flat_store_b8 v[86:87], v96 th:TH_STORE_NT
	s_wait_xcnt 0x0
	s_and_not1_b32 exec_lo, exec_lo, s17
	s_cbranch_execnz .LBB4_268
.LBB4_269:                              ;   in Loop: Header=BB4_77 Depth=1
	s_or_b32 exec_lo, exec_lo, s16
.LBB4_270:                              ;   in Loop: Header=BB4_77 Depth=1
	v_cmp_lt_i32_e64 s16, 0, v34
	s_and_saveexec_b32 s17, s3
	s_cbranch_execnz .LBB4_272
	s_branch .LBB4_376
.LBB4_271:                              ;   in Loop: Header=BB4_77 Depth=1
	s_mov_b32 s16, 0
	s_and_saveexec_b32 s17, s3
	s_cbranch_execz .LBB4_376
.LBB4_272:                              ;   in Loop: Header=BB4_77 Depth=1
	s_and_saveexec_b32 s18, s4
	s_delay_alu instid0(SALU_CYCLE_1)
	s_xor_b32 s18, exec_lo, s18
	s_cbranch_execz .LBB4_373
; %bb.273:                              ;   in Loop: Header=BB4_77 Depth=1
	s_and_saveexec_b32 s19, s7
	s_cbranch_execz .LBB4_372
; %bb.274:                              ;   in Loop: Header=BB4_77 Depth=1
	s_mov_b32 s21, exec_lo
	s_mov_b32 s20, exec_lo
	v_mbcnt_lo_u32_b32 v10, s21, 0
	global_wb scope:SCOPE_DEV
	s_wait_storecnt 0x0
	s_wait_loadcnt_dscnt 0x0
	global_inv scope:SCOPE_DEV
	v_cmpx_eq_u32_e32 0, v10
	s_cbranch_execz .LBB4_276
; %bb.275:                              ;   in Loop: Header=BB4_77 Depth=1
	s_bcnt1_i32_b32 s21, s21
	s_delay_alu instid0(SALU_CYCLE_1)
	v_mov_b32_e32 v34, s21
	s_wait_loadcnt 0x0
	ds_add_u64 v0, v[34:35]
	s_trap 2
.LBB4_276:                              ;   in Loop: Header=BB4_77 Depth=1
	s_or_b32 exec_lo, exec_lo, s20
	s_trap 2
	ds_load_b64 v[10:11], v0
	s_wait_dscnt 0x0
	v_add_nc_u64_e32 v[26:27], v[26:27], v[36:37]
	s_mov_b32 s20, exec_lo
	s_delay_alu instid0(VALU_DEP_1)
	v_cmpx_lt_u64_e64 v[10:11], v[26:27]
	s_cbranch_execz .LBB4_371
; %bb.277:                              ;   in Loop: Header=BB4_77 Depth=1
	s_mov_b32 s21, 0
	s_mov_b32 s45, 0
                                        ; implicit-def: $sgpr43
                                        ; implicit-def: $sgpr44
	s_branch .LBB4_279
.LBB4_278:                              ;   in Loop: Header=BB4_279 Depth=2
	s_or_b32 exec_lo, exec_lo, s47
	s_delay_alu instid0(SALU_CYCLE_1) | instskip(NEXT) | instid1(SALU_CYCLE_1)
	s_and_b32 s46, exec_lo, s56
	s_or_b32 s21, s46, s21
	s_and_not1_b32 s43, s43, exec_lo
	s_and_b32 s46, s44, exec_lo
	s_delay_alu instid0(SALU_CYCLE_1)
	s_or_b32 s43, s43, s46
	s_and_not1_b32 exec_lo, exec_lo, s21
	s_cbranch_execz .LBB4_369
.LBB4_279:                              ;   Parent Loop BB4_77 Depth=1
                                        ; =>  This Inner Loop Header: Depth=2
	s_add_co_i32 s45, s45, 1
	s_delay_alu instid0(SALU_CYCLE_1) | instskip(SKIP_1) | instid1(SALU_CYCLE_1)
	s_cmp_lg_u32 s45, 0x2710
	s_cselect_b32 s46, -1, 0
	s_and_b32 vcc_lo, exec_lo, s46
	s_cbranch_vccz .LBB4_281
; %bb.280:                              ;   in Loop: Header=BB4_279 Depth=2
	s_mov_b32 s56, -1
	s_or_b32 s44, s44, exec_lo
	s_and_saveexec_b32 s47, s46
	s_cbranch_execz .LBB4_278
	s_branch .LBB4_282
.LBB4_281:                              ;   in Loop: Header=BB4_279 Depth=2
	s_trap 2
	ds_load_b64 v[10:11], v0
	s_and_not1_b32 s46, s46, exec_lo
	s_mov_b32 s45, 0
	s_wait_loadcnt_dscnt 0x0
	flat_load_b32 v10, v[10:11] scope:SCOPE_SYS
	s_wait_loadcnt_dscnt 0x0
	global_inv scope:SCOPE_SYS
	v_cmp_eq_u32_e32 vcc_lo, 0, v10
	s_and_b32 s47, vcc_lo, exec_lo
	s_delay_alu instid0(SALU_CYCLE_1)
	s_or_b32 s46, s46, s47
	s_mov_b32 s56, -1
	s_or_b32 s44, s44, exec_lo
	s_and_saveexec_b32 s47, s46
	s_cbranch_execz .LBB4_278
.LBB4_282:                              ;   in Loop: Header=BB4_279 Depth=2
	s_sleep 1
	s_trap 2
	ds_load_b64 v[10:11], v0
	s_wait_dscnt 0x0
	s_and_not1_b32 s44, s44, exec_lo
	v_cmp_ge_u64_e32 vcc_lo, v[10:11], v[26:27]
	s_or_not1_b32 s56, vcc_lo, exec_lo
	s_branch .LBB4_278
.LBB4_283:                              ;   in Loop: Header=BB4_77 Depth=1
	s_or_b32 exec_lo, exec_lo, s20
	s_and_saveexec_b32 s20, s21
	s_delay_alu instid0(SALU_CYCLE_1)
	s_xor_b32 s20, exec_lo, s20
	s_cbranch_execz .LBB4_285
; %bb.284:                              ;   in Loop: Header=BB4_77 Depth=1
	ds_store_b32 v0, v116
	s_trap 2
.LBB4_285:                              ;   in Loop: Header=BB4_77 Depth=1
	s_or_b32 exec_lo, exec_lo, s19
	;;#ASMSTART
	s_wakeup
	;;#ASMEND
.LBB4_286:                              ;   in Loop: Header=BB4_77 Depth=1
	s_or_b32 exec_lo, exec_lo, s18
.LBB4_287:                              ;   in Loop: Header=BB4_77 Depth=1
	s_and_not1_saveexec_b32 s17, s17
	s_cbranch_execz .LBB4_289
; %bb.288:                              ;   in Loop: Header=BB4_77 Depth=1
	global_wb scope:SCOPE_DEV
	s_wait_storecnt 0x0
	s_wait_loadcnt_dscnt 0x0
	global_inv scope:SCOPE_DEV
	s_barrier_signal -1
	s_barrier_wait -1
.LBB4_289:                              ;   in Loop: Header=BB4_77 Depth=1
	s_or_b32 exec_lo, exec_lo, s17
.LBB4_290:                              ;   in Loop: Header=BB4_77 Depth=1
	s_delay_alu instid0(SALU_CYCLE_1)
	s_or_b32 exec_lo, exec_lo, s16
	s_trap 2
	ds_load_b64 v[86:87], v0
	s_wait_dscnt 0x0
	v_cmp_eq_u64_e32 vcc_lo, 0, v[86:87]
	s_cbranch_vccnz .LBB4_357
; %bb.291:                              ;   in Loop: Header=BB4_77 Depth=1
	s_trap 2
	ds_load_b64 v[96:97], v0
	s_wait_dscnt 0x0
	v_cmp_eq_u64_e32 vcc_lo, 0, v[96:97]
	s_cbranch_vccnz .LBB4_357
; %bb.292:                              ;   in Loop: Header=BB4_77 Depth=1
	s_trap 2
	ds_load_b64 v[98:99], v0
	v_cmp_eq_u32_e64 s16, 0, v10
	s_delay_alu instid0(VALU_DEP_1)
	v_cndmask_b32_e64 v34, 0, v84, s16
	s_mov_b32 s16, -1
	s_wait_dscnt 0x0
	v_cmp_ne_u64_e32 vcc_lo, 0, v[98:99]
	s_cbranch_vccz .LBB4_327
; %bb.293:                              ;   in Loop: Header=BB4_77 Depth=1
	s_and_saveexec_b32 s17, s13
	s_cbranch_execz .LBB4_295
; %bb.294:                              ;   in Loop: Header=BB4_77 Depth=1
	ds_load_b32 v10, v0 offset:720
	s_wait_dscnt 0x0
	v_and_b32_e32 v10, 15, v10
	s_delay_alu instid0(VALU_DEP_1)
	v_cmp_eq_u32_e32 vcc_lo, 0, v10
	s_or_not1_b32 s16, vcc_lo, exec_lo
.LBB4_295:                              ;   in Loop: Header=BB4_77 Depth=1
	s_or_b32 exec_lo, exec_lo, s17
	s_and_saveexec_b32 s17, s12
	s_cbranch_execz .LBB4_297
; %bb.296:                              ;   in Loop: Header=BB4_77 Depth=1
	ds_load_b32 v10, v0 offset:784
	s_wait_dscnt 0x0
	v_and_b32_e32 v10, 15, v10
	s_delay_alu instid0(VALU_DEP_1) | instskip(SKIP_3) | instid1(SALU_CYCLE_1)
	v_cmp_eq_u32_e32 vcc_lo, 0, v10
	s_and_b32 s18, s16, vcc_lo
	s_and_not1_b32 s16, s16, exec_lo
	s_and_b32 s18, s18, exec_lo
	s_or_b32 s16, s16, s18
.LBB4_297:                              ;   in Loop: Header=BB4_77 Depth=1
	s_or_b32 exec_lo, exec_lo, s17
	s_xor_b32 s16, s16, -1
	v_dual_mov_b32 v85, 0 :: v_dual_mov_b32 v100, v34
	v_cndmask_b32_e64 v10, 0, 1, s16
	v_mov_b32_e32 v101, v0
	s_mov_b32 s17, -1
	s_delay_alu instid0(VALU_DEP_2)
	v_cmp_ne_u32_e32 vcc_lo, 0, v10
	v_mov_b32_e32 v10, v119
	s_cbranch_vccnz .LBB4_315
; %bb.298:                              ;   in Loop: Header=BB4_77 Depth=1
	v_ashrrev_i32_e32 v10, 31, v34
	v_sub_nc_u32_e32 v85, v34, v38
	s_mov_b32 s19, exec_lo
	s_delay_alu instid0(VALU_DEP_2) | instskip(NEXT) | instid1(VALU_DEP_1)
	v_lshrrev_b32_e32 v10, 23, v10
	v_add_nc_u32_e32 v10, v34, v10
	s_delay_alu instid0(VALU_DEP_1) | instskip(NEXT) | instid1(VALU_DEP_1)
	v_and_b32_e32 v43, 0xfffffe00, v10
	v_dual_ashrrev_i32 v10, 9, v10 :: v_dual_sub_nc_u32 v45, v34, v43
	s_delay_alu instid0(VALU_DEP_1) | instskip(NEXT) | instid1(VALU_DEP_1)
	v_cmp_lt_i32_e64 s16, 15, v45
	v_add_co_ci_u32_e64 v46, null, v10, v41, s16
	v_cmpx_lt_i32_e32 15, v85
	s_cbranch_execz .LBB4_304
; %bb.299:                              ;   in Loop: Header=BB4_77 Depth=1
	v_add_nc_u64_e32 v[100:101], v[86:87], v[38:39]
	v_add_nc_u64_e32 v[102:103], v[96:97], v[38:39]
	;; [unrolled: 1-line block ×3, first 2 shown]
	s_mov_b32 s44, 0
.LBB4_300:                              ;   Parent Loop BB4_77 Depth=1
                                        ; =>  This Loop Header: Depth=2
                                        ;       Child Loop BB4_301 Depth 3
	global_load_b128 v[10:13], v[100:101], off th:TH_LOAD_NT
	s_mov_b64 s[20:21], 0
	s_mov_b32 s45, -1
.LBB4_301:                              ;   Parent Loop BB4_77 Depth=1
                                        ;     Parent Loop BB4_300 Depth=2
                                        ; =>    This Inner Loop Header: Depth=3
	s_cmp_eq_u32 s20, 1
	s_cselect_b32 vcc_lo, -1, 0
	s_cmp_eq_u32 s20, 0
	s_wait_xcnt 0x0
	v_dual_cndmask_b32 v57, v103, v113 :: v_dual_cndmask_b32 v56, v102, v112
	s_cselect_b32 s17, -1, 0
	s_and_b32 s18, exec_lo, s45
	s_mov_b64 s[20:21], 1
	s_mov_b32 s45, 0
	v_add_nc_u64_e32 v[58:59], 0x200, v[56:57]
	s_wait_loadcnt 0x0
	global_store_b128 v[56:57], v[10:13], off th:TH_STORE_NT
	v_dual_cndmask_b32 v113, v113, v59 :: v_dual_cndmask_b32 v112, v112, v58
	v_dual_cndmask_b32 v103, v103, v59, s17 :: v_dual_cndmask_b32 v102, v102, v58, s17
	s_mov_b32 vcc_lo, s18
	s_cbranch_vccnz .LBB4_301
; %bb.302:                              ;   in Loop: Header=BB4_300 Depth=2
	v_dual_sub_nc_u32 v85, v85, v118 :: v_dual_sub_nc_u32 v46, v46, v36
	s_delay_alu instid0(VALU_DEP_2)
	v_add_nc_u64_e32 v[102:103], v[102:103], v[68:69]
	v_add_nc_u64_e32 v[112:113], v[112:113], v[68:69]
	s_wait_xcnt 0x1
	v_add_nc_u64_e32 v[100:101], v[80:81], v[100:101]
	v_cmp_gt_i32_e32 vcc_lo, 16, v85
	s_or_b32 s44, vcc_lo, s44
	s_wait_xcnt 0x0
	s_and_not1_b32 exec_lo, exec_lo, s44
	s_cbranch_execnz .LBB4_300
; %bb.303:                              ;   in Loop: Header=BB4_77 Depth=1
	s_or_b32 exec_lo, exec_lo, s44
.LBB4_304:                              ;   in Loop: Header=BB4_77 Depth=1
	s_delay_alu instid0(SALU_CYCLE_1) | instskip(SKIP_3) | instid1(VALU_DEP_1)
	s_or_b32 exec_lo, exec_lo, s19
	v_dual_mov_b32 v85, 0 :: v_dual_bitop2_b32 v11, 15, v34 bitop3:0x40
	s_mov_b32 s17, 0
	s_mov_b32 s19, exec_lo
                                        ; implicit-def: $vgpr100
                                        ; implicit-def: $vgpr101
                                        ; implicit-def: $vgpr10
	v_cndmask_b32_e64 v44, v45, v11, s16
	s_delay_alu instid0(VALU_DEP_1)
	v_cmpx_ne_u32_e32 0, v44
	s_cbranch_execz .LBB4_314
; %bb.305:                              ;   in Loop: Header=BB4_77 Depth=1
	v_cmp_lt_i32_e32 vcc_lo, 0, v46
	v_ashrrev_i32_e32 v13, 31, v44
	s_mov_b32 s44, exec_lo
	v_dual_cndmask_b32 v10, 0, v36 :: v_dual_sub_nc_u32 v11, v45, v11
	s_delay_alu instid0(VALU_DEP_1) | instskip(NEXT) | instid1(VALU_DEP_1)
	v_dual_lshrrev_b32 v13, 23, v13 :: v_dual_sub_nc_u32 v10, v10, v46
	v_add_nc_u32_e32 v13, v44, v13
	s_delay_alu instid0(VALU_DEP_2) | instskip(NEXT) | instid1(VALU_DEP_2)
	v_lshl_add_u32 v10, v10, 5, v40
	v_and_b32_e32 v46, 0xfffffe00, v13
	s_delay_alu instid0(VALU_DEP_2) | instskip(NEXT) | instid1(VALU_DEP_1)
	v_dual_ashrrev_i32 v13, 9, v13 :: v_dual_ashrrev_i32 v12, 31, v10
	v_dual_sub_nc_u32 v45, v44, v46 :: v_dual_lshrrev_b32 v12, 27, v12
	s_delay_alu instid0(VALU_DEP_1) | instskip(NEXT) | instid1(VALU_DEP_1)
	v_add_nc_u32_e32 v12, v10, v12
	v_and_b32_e32 v85, 0xffffffe0, v12
	s_delay_alu instid0(VALU_DEP_1) | instskip(NEXT) | instid1(VALU_DEP_1)
	v_sub_nc_u32_e32 v47, v10, v85
	v_dual_lshlrev_b32 v10, 4, v47 :: v_dual_ashrrev_i32 v12, 5, v12
	s_delay_alu instid0(VALU_DEP_1) | instskip(SKIP_2) | instid1(VALU_DEP_3)
	v_lshl_add_u32 v10, v12, 9, v10
	v_cndmask_b32_e64 v11, 0, v11, s16
	v_cmp_lt_i32_e64 s16, 15, v45
	v_sub_nc_u32_e32 v85, v44, v10
	s_delay_alu instid0(VALU_DEP_2) | instskip(NEXT) | instid1(VALU_DEP_1)
	v_add_co_ci_u32_e64 v13, null, 0, v13, s16
	v_dual_add_nc_u32 v43, v11, v43 :: v_dual_sub_nc_u32 v56, v13, v12
	s_delay_alu instid0(VALU_DEP_3)
	v_cmpx_lt_i32_e32 15, v85
	s_cbranch_execz .LBB4_311
; %bb.306:                              ;   in Loop: Header=BB4_77 Depth=1
	s_delay_alu instid0(VALU_DEP_2) | instskip(SKIP_1) | instid1(VALU_DEP_1)
	v_add_nc_u32_e32 v10, v10, v43
	s_mov_b32 s45, 0
	v_ashrrev_i32_e32 v11, 31, v10
	s_delay_alu instid0(VALU_DEP_1)
	v_add_nc_u64_e32 v[100:101], v[10:11], v[86:87]
	v_add_nc_u64_e32 v[102:103], v[10:11], v[96:97]
	;; [unrolled: 1-line block ×3, first 2 shown]
.LBB4_307:                              ;   Parent Loop BB4_77 Depth=1
                                        ; =>  This Loop Header: Depth=2
                                        ;       Child Loop BB4_308 Depth 3
	global_load_b128 v[10:13], v[100:101], off th:TH_LOAD_NT
	s_mov_b64 s[20:21], 0
	s_mov_b32 s46, -1
.LBB4_308:                              ;   Parent Loop BB4_77 Depth=1
                                        ;     Parent Loop BB4_307 Depth=2
                                        ; =>    This Inner Loop Header: Depth=3
	s_cmp_eq_u32 s20, 1
	s_cselect_b32 vcc_lo, -1, 0
	s_cmp_eq_u32 s20, 0
	s_wait_xcnt 0x0
	v_dual_cndmask_b32 v59, v103, v113 :: v_dual_cndmask_b32 v58, v102, v112
	s_cselect_b32 s17, -1, 0
	s_and_b32 s18, exec_lo, s46
	s_mov_b64 s[20:21], 1
	s_mov_b32 s46, 0
	v_add_nc_u64_e32 v[60:61], 0x200, v[58:59]
	s_wait_loadcnt 0x0
	global_store_b128 v[58:59], v[10:13], off th:TH_STORE_NT
	v_dual_cndmask_b32 v113, v113, v61 :: v_dual_cndmask_b32 v112, v112, v60
	v_dual_cndmask_b32 v103, v103, v61, s17 :: v_dual_cndmask_b32 v102, v102, v60, s17
	s_mov_b32 vcc_lo, s18
	s_cbranch_vccnz .LBB4_308
; %bb.309:                              ;   in Loop: Header=BB4_307 Depth=2
	v_dual_sub_nc_u32 v85, v85, v118 :: v_dual_sub_nc_u32 v56, v56, v36
	s_delay_alu instid0(VALU_DEP_2)
	v_add_nc_u64_e32 v[102:103], v[102:103], v[68:69]
	v_add_nc_u64_e32 v[112:113], v[112:113], v[68:69]
	s_wait_xcnt 0x1
	v_add_nc_u64_e32 v[100:101], v[80:81], v[100:101]
	v_cmp_gt_i32_e32 vcc_lo, 16, v85
	s_or_b32 s45, vcc_lo, s45
	s_wait_xcnt 0x0
	s_and_not1_b32 exec_lo, exec_lo, s45
	s_cbranch_execnz .LBB4_307
; %bb.310:                              ;   in Loop: Header=BB4_77 Depth=1
	s_or_b32 exec_lo, exec_lo, s45
.LBB4_311:                              ;   in Loop: Header=BB4_77 Depth=1
	s_delay_alu instid0(SALU_CYCLE_1) | instskip(SKIP_3) | instid1(VALU_DEP_1)
	s_or_b32 exec_lo, exec_lo, s44
	v_dual_mov_b32 v85, 0 :: v_dual_bitop2_b32 v11, 15, v44 bitop3:0x40
	s_mov_b32 s17, 0
	s_mov_b32 s18, exec_lo
                                        ; implicit-def: $vgpr101
                                        ; implicit-def: $vgpr10
	v_cndmask_b32_e64 v100, v45, v11, s16
	s_delay_alu instid0(VALU_DEP_1)
	v_cmpx_ne_u32_e32 0, v100
	s_cbranch_execz .LBB4_313
; %bb.312:                              ;   in Loop: Header=BB4_77 Depth=1
	v_cmp_lt_i32_e32 vcc_lo, 0, v56
	s_mov_b32 s17, exec_lo
	v_dual_cndmask_b32 v10, 0, v36 :: v_dual_sub_nc_u32 v11, v45, v11
	s_delay_alu instid0(VALU_DEP_1) | instskip(NEXT) | instid1(VALU_DEP_1)
	v_dual_cndmask_b32 v11, 0, v11, s16 :: v_dual_sub_nc_u32 v10, v10, v56
	v_add3_u32 v85, v46, v43, v11
	s_delay_alu instid0(VALU_DEP_2) | instskip(NEXT) | instid1(VALU_DEP_1)
	v_lshl_add_u32 v101, v10, 5, v47
	v_ashrrev_i32_e32 v10, 31, v101
	s_delay_alu instid0(VALU_DEP_1) | instskip(NEXT) | instid1(VALU_DEP_1)
	v_lshrrev_b32_e32 v10, 27, v10
	v_add_nc_u32_e32 v10, v101, v10
	s_delay_alu instid0(VALU_DEP_1)
	v_ashrrev_i32_e32 v10, 5, v10
.LBB4_313:                              ;   in Loop: Header=BB4_77 Depth=1
	s_or_b32 exec_lo, exec_lo, s18
	s_delay_alu instid0(SALU_CYCLE_1)
	s_and_b32 s17, s17, exec_lo
.LBB4_314:                              ;   in Loop: Header=BB4_77 Depth=1
	s_or_b32 exec_lo, exec_lo, s19
.LBB4_315:                              ;   in Loop: Header=BB4_77 Depth=1
	s_and_saveexec_b32 s20, s17
	s_cbranch_execz .LBB4_326
; %bb.316:                              ;   in Loop: Header=BB4_77 Depth=1
	v_ashrrev_i32_e32 v11, 31, v100
	s_mov_b32 s16, exec_lo
	s_delay_alu instid0(VALU_DEP_1) | instskip(NEXT) | instid1(VALU_DEP_1)
	v_lshrrev_b32_e32 v11, 24, v11
	v_add_nc_u32_e32 v11, v100, v11
	s_delay_alu instid0(VALU_DEP_1) | instskip(NEXT) | instid1(VALU_DEP_1)
	v_dual_ashrrev_i32 v112, 8, v11 :: v_dual_ashrrev_i32 v11, 31, v101
	v_dual_sub_nc_u32 v102, v112, v10 :: v_dual_lshrrev_b32 v103, 27, v11
	s_delay_alu instid0(VALU_DEP_1)
	v_cmpx_lt_i32_e32 0, v102
	s_cbranch_execz .LBB4_320
; %bb.317:                              ;   in Loop: Header=BB4_77 Depth=1
	s_delay_alu instid0(VALU_DEP_2) | instskip(SKIP_2) | instid1(VALU_DEP_2)
	v_dual_add_nc_u32 v11, v101, v103 :: v_dual_lshlrev_b32 v10, 8, v10
	v_add_nc_u64_e32 v[46:47], 0xe0, v[86:87]
	s_mov_b32 s17, 0
	v_and_b32_e32 v11, 0xffffffe0, v11
	s_delay_alu instid0(VALU_DEP_1) | instskip(NEXT) | instid1(VALU_DEP_1)
	v_sub_nc_u32_e32 v11, v101, v11
	v_add3_u32 v44, v85, v11, v10
	s_delay_alu instid0(VALU_DEP_1) | instskip(NEXT) | instid1(VALU_DEP_1)
	v_ashrrev_i32_e32 v45, 31, v44
	v_add_nc_u64_e32 v[10:11], v[44:45], v[96:97]
	v_add_nc_u64_e32 v[12:13], v[44:45], v[98:99]
	;; [unrolled: 1-line block ×3, first 2 shown]
.LBB4_318:                              ;   Parent Loop BB4_77 Depth=1
                                        ; =>  This Inner Loop Header: Depth=2
	s_clause 0x7
	flat_load_u8 v113, v[98:99] offset:-224 th:TH_LOAD_NT
	flat_load_u8 v43, v[98:99] offset:-192 th:TH_LOAD_NT
	;; [unrolled: 1-line block ×7, first 2 shown]
	flat_load_u8 v57, v[98:99] th:TH_LOAD_NT
	v_sub_nc_u32_e32 v102, v102, v36
	s_wait_xcnt 0x0
	v_add_nc_u64_e32 v[98:99], v[98:99], v[54:55]
	s_wait_loadcnt_dscnt 0x707
	flat_store_b8 v[10:11], v113 th:TH_STORE_NT
	s_wait_loadcnt_dscnt 0x607
	flat_store_b8 v[10:11], v43 offset:32 th:TH_STORE_NT
	s_wait_loadcnt_dscnt 0x507
	flat_store_b8 v[10:11], v44 offset:64 th:TH_STORE_NT
	;; [unrolled: 2-line block ×7, first 2 shown]
	s_clause 0x7
	flat_store_b8 v[12:13], v113 th:TH_STORE_NT
	flat_store_b8 v[12:13], v43 offset:32 th:TH_STORE_NT
	flat_store_b8 v[12:13], v44 offset:64 th:TH_STORE_NT
	;; [unrolled: 1-line block ×7, first 2 shown]
	v_cmp_gt_i32_e32 vcc_lo, 1, v102
	s_wait_xcnt 0x8
	v_add_nc_u64_e32 v[10:11], v[10:11], v[54:55]
	s_wait_xcnt 0x0
	v_add_nc_u64_e32 v[12:13], v[12:13], v[54:55]
	s_or_b32 s17, vcc_lo, s17
	s_delay_alu instid0(SALU_CYCLE_1)
	s_and_not1_b32 exec_lo, exec_lo, s17
	s_cbranch_execnz .LBB4_318
; %bb.319:                              ;   in Loop: Header=BB4_77 Depth=1
	s_or_b32 exec_lo, exec_lo, s17
.LBB4_320:                              ;   in Loop: Header=BB4_77 Depth=1
	s_delay_alu instid0(SALU_CYCLE_1) | instskip(SKIP_1) | instid1(VALU_DEP_1)
	s_or_b32 exec_lo, exec_lo, s16
	v_lshlrev_b32_e32 v10, 8, v112
	v_cmp_ne_u32_e32 vcc_lo, v100, v10
	s_and_b32 exec_lo, exec_lo, vcc_lo
	s_cbranch_execz .LBB4_326
; %bb.321:                              ;   in Loop: Header=BB4_77 Depth=1
	v_dual_add_nc_u32 v11, v101, v103 :: v_dual_lshlrev_b32 v12, 5, v102
	s_delay_alu instid0(VALU_DEP_1) | instskip(NEXT) | instid1(VALU_DEP_1)
	v_and_b32_e32 v11, 0xffffffe0, v11
	v_sub_nc_u32_e32 v11, v101, v11
	s_delay_alu instid0(VALU_DEP_1) | instskip(NEXT) | instid1(VALU_DEP_1)
	v_sub_nc_u32_e32 v11, v11, v12
	v_add_nc_u32_e32 v10, v10, v11
	s_delay_alu instid0(VALU_DEP_1) | instskip(NEXT) | instid1(VALU_DEP_1)
	v_sub_nc_u32_e32 v100, v100, v10
	v_cmp_lt_i32_e32 vcc_lo, 0, v100
	s_and_b32 exec_lo, exec_lo, vcc_lo
	s_cbranch_execz .LBB4_326
; %bb.322:                              ;   in Loop: Header=BB4_77 Depth=1
	s_trap 2
	ds_load_b64 v[12:13], v0
	ds_load_b128 v[44:47], v0
	v_add_nc_u32_e32 v98, v10, v85
	s_mov_b32 s21, 0
	s_delay_alu instid0(VALU_DEP_1) | instskip(SKIP_1) | instid1(VALU_DEP_1)
	v_ashrrev_i32_e32 v99, 31, v98
	s_wait_dscnt 0x1
	v_add_nc_u64_e32 v[10:11], v[12:13], v[98:99]
	s_wait_dscnt 0x0
	v_add_nc_u64_e32 v[12:13], v[44:45], v[98:99]
	v_add_nc_u64_e32 v[98:99], v[46:47], v[98:99]
.LBB4_323:                              ;   Parent Loop BB4_77 Depth=1
                                        ; =>  This Loop Header: Depth=2
                                        ;       Child Loop BB4_324 Depth 3
	flat_load_u8 v85, v[10:11] th:TH_LOAD_NT
	s_mov_b64 s[18:19], 0
	s_mov_b32 s44, -1
.LBB4_324:                              ;   Parent Loop BB4_77 Depth=1
                                        ;     Parent Loop BB4_323 Depth=2
                                        ; =>    This Inner Loop Header: Depth=3
	s_cmp_eq_u32 s18, 1
	s_cselect_b32 vcc_lo, -1, 0
	s_cmp_eq_u32 s18, 0
	s_wait_xcnt 0x0
	v_dual_cndmask_b32 v103, v13, v99 :: v_dual_cndmask_b32 v102, v12, v98
	s_cselect_b32 s16, -1, 0
	s_and_b32 s17, exec_lo, s44
	s_mov_b64 s[18:19], 1
	s_mov_b32 s44, 0
	v_add_nc_u64_e32 v[112:113], 32, v[102:103]
	s_wait_loadcnt_dscnt 0x0
	flat_store_b8 v[102:103], v85 th:TH_STORE_NT
	v_dual_cndmask_b32 v99, v99, v113 :: v_dual_cndmask_b32 v98, v98, v112
	v_dual_cndmask_b32 v13, v13, v113, s16 :: v_dual_cndmask_b32 v12, v12, v112, s16
	s_mov_b32 vcc_lo, s17
	s_cbranch_vccnz .LBB4_324
; %bb.325:                              ;   in Loop: Header=BB4_323 Depth=2
	v_sub_nc_u32_e32 v100, v100, v1
	s_delay_alu instid0(VALU_DEP_2)
	v_add_nc_u64_e32 v[12:13], v[12:13], v[64:65]
	v_add_nc_u64_e32 v[98:99], v[98:99], v[64:65]
	s_wait_xcnt 0x1
	v_add_nc_u64_e32 v[10:11], v[70:71], v[10:11]
	v_cmp_gt_i32_e32 vcc_lo, 1, v100
	s_or_b32 s21, vcc_lo, s21
	s_wait_xcnt 0x0
	s_and_not1_b32 exec_lo, exec_lo, s21
	s_cbranch_execnz .LBB4_323
.LBB4_326:                              ;   in Loop: Header=BB4_77 Depth=1
	s_or_b32 exec_lo, exec_lo, s20
	s_mov_b32 s16, 0
.LBB4_327:                              ;   in Loop: Header=BB4_77 Depth=1
	s_delay_alu instid0(SALU_CYCLE_1)
	s_and_b32 vcc_lo, exec_lo, s16
	s_cbranch_vccz .LBB4_356
; %bb.328:                              ;   in Loop: Header=BB4_77 Depth=1
	s_mov_b32 s16, -1
	s_and_saveexec_b32 s17, s13
	s_cbranch_execz .LBB4_330
; %bb.329:                              ;   in Loop: Header=BB4_77 Depth=1
	ds_load_b32 v10, v0 offset:720
	s_wait_dscnt 0x0
	v_and_b32_e32 v10, 15, v10
	s_delay_alu instid0(VALU_DEP_1)
	v_cmp_eq_u32_e32 vcc_lo, 0, v10
	s_or_not1_b32 s16, vcc_lo, exec_lo
.LBB4_330:                              ;   in Loop: Header=BB4_77 Depth=1
	s_or_b32 exec_lo, exec_lo, s17
	s_and_saveexec_b32 s17, s13
	s_cbranch_execz .LBB4_332
; %bb.331:                              ;   in Loop: Header=BB4_77 Depth=1
	ds_load_b32 v10, v0 offset:784
	s_wait_dscnt 0x0
	v_and_b32_e32 v10, 15, v10
	s_delay_alu instid0(VALU_DEP_1) | instskip(SKIP_3) | instid1(SALU_CYCLE_1)
	v_cmp_eq_u32_e32 vcc_lo, 0, v10
	s_and_b32 s18, s16, vcc_lo
	s_and_not1_b32 s16, s16, exec_lo
	s_and_b32 s18, s18, exec_lo
	s_or_b32 s16, s16, s18
.LBB4_332:                              ;   in Loop: Header=BB4_77 Depth=1
	s_or_b32 exec_lo, exec_lo, s17
	s_xor_b32 s16, s16, -1
	v_dual_mov_b32 v12, 0 :: v_dual_mov_b32 v13, v34
	v_cndmask_b32_e64 v10, 0, 1, s16
	v_mov_b32_e32 v85, v0
	s_mov_b32 s18, -1
	s_delay_alu instid0(VALU_DEP_2)
	v_cmp_ne_u32_e32 vcc_lo, 0, v10
	v_mov_b32_e32 v10, v119
	s_cbranch_vccnz .LBB4_346
; %bb.333:                              ;   in Loop: Header=BB4_77 Depth=1
	v_ashrrev_i32_e32 v10, 31, v34
	s_mov_b32 s16, exec_lo
	s_delay_alu instid0(VALU_DEP_1) | instskip(NEXT) | instid1(VALU_DEP_1)
	v_lshrrev_b32_e32 v10, 22, v10
	v_add_nc_u32_e32 v10, v34, v10
	s_delay_alu instid0(VALU_DEP_1) | instskip(NEXT) | instid1(VALU_DEP_1)
	v_ashrrev_i32_e32 v12, 10, v10
	v_sub_nc_u32_e32 v99, v12, v119
	s_delay_alu instid0(VALU_DEP_1)
	v_cmpx_lt_i32_e32 0, v99
	s_cbranch_execz .LBB4_337
; %bb.334:                              ;   in Loop: Header=BB4_77 Depth=1
	v_mov_b64_e32 v[10:11], v[82:83]
	s_mov_b32 s17, 0
.LBB4_335:                              ;   Parent Loop BB4_77 Depth=1
                                        ; =>  This Inner Loop Header: Depth=2
	s_delay_alu instid0(VALU_DEP_1)
	v_add_nc_u64_e32 v[112:113], v[86:87], v[10:11]
	v_sub_nc_u32_e32 v99, v99, v36
	s_clause 0x1
	global_load_b128 v[100:103], v[112:113], off th:TH_LOAD_NT
	global_load_b128 v[44:47], v[112:113], off offset:512 th:TH_LOAD_NT
	s_wait_xcnt 0x0
	v_add_nc_u64_e32 v[112:113], v[96:97], v[10:11]
	v_cmp_gt_i32_e32 vcc_lo, 1, v99
	v_add_nc_u64_e32 v[10:11], v[10:11], v[66:67]
	s_wait_loadcnt 0x1
	global_store_b128 v[112:113], v[100:103], off th:TH_STORE_NT
	s_wait_loadcnt 0x0
	global_store_b128 v[112:113], v[44:47], off offset:512 th:TH_STORE_NT
	s_or_b32 s17, vcc_lo, s17
	s_wait_xcnt 0x0
	s_and_not1_b32 exec_lo, exec_lo, s17
	s_cbranch_execnz .LBB4_335
; %bb.336:                              ;   in Loop: Header=BB4_77 Depth=1
	s_or_b32 exec_lo, exec_lo, s17
.LBB4_337:                              ;   in Loop: Header=BB4_77 Depth=1
	s_delay_alu instid0(SALU_CYCLE_1) | instskip(SKIP_3) | instid1(VALU_DEP_1)
	s_or_b32 exec_lo, exec_lo, s16
	v_dual_lshlrev_b32 v98, 10, v12 :: v_dual_mov_b32 v12, 0
	s_mov_b32 s18, 0
	s_mov_b32 s17, exec_lo
                                        ; implicit-def: $vgpr13
                                        ; implicit-def: $vgpr85
                                        ; implicit-def: $vgpr10
	v_cmpx_ne_u32_e64 v34, v98
	s_cbranch_execz .LBB4_345
; %bb.338:                              ;   in Loop: Header=BB4_77 Depth=1
	v_dual_lshlrev_b32 v10, 5, v99 :: v_dual_sub_nc_u32 v12, v34, v98
	s_mov_b32 s18, exec_lo
	s_delay_alu instid0(VALU_DEP_1) | instskip(NEXT) | instid1(VALU_DEP_1)
	v_dual_sub_nc_u32 v10, v40, v10 :: v_dual_ashrrev_i32 v13, 31, v12
	v_dual_ashrrev_i32 v11, 31, v10 :: v_dual_lshrrev_b32 v13, 23, v13
	s_delay_alu instid0(VALU_DEP_1) | instskip(NEXT) | instid1(VALU_DEP_1)
	v_lshrrev_b32_e32 v11, 27, v11
	v_dual_add_nc_u32 v11, v10, v11 :: v_dual_add_nc_u32 v13, v12, v13
	s_delay_alu instid0(VALU_DEP_1) | instskip(SKIP_1) | instid1(VALU_DEP_3)
	v_and_b32_e32 v85, 0xffffffe0, v11
	v_ashrrev_i32_e32 v11, 5, v11
	v_and_b32_e32 v99, 0xfffffe00, v13
	v_ashrrev_i32_e32 v13, 9, v13
	s_delay_alu instid0(VALU_DEP_2) | instskip(NEXT) | instid1(VALU_DEP_1)
	v_dual_sub_nc_u32 v100, v10, v85 :: v_dual_sub_nc_u32 v101, v12, v99
	v_lshlrev_b32_e32 v10, 4, v100
	s_delay_alu instid0(VALU_DEP_2) | instskip(NEXT) | instid1(VALU_DEP_2)
	v_cmp_lt_i32_e32 vcc_lo, 15, v101
	v_lshl_add_u32 v10, v11, 9, v10
	v_add_co_ci_u32_e64 v13, null, 0, v13, vcc_lo
	s_delay_alu instid0(VALU_DEP_1) | instskip(NEXT) | instid1(VALU_DEP_1)
	v_dual_sub_nc_u32 v12, v12, v10 :: v_dual_sub_nc_u32 v102, v13, v11
	v_cmpx_lt_i32_e32 15, v12
	s_cbranch_execz .LBB4_342
; %bb.339:                              ;   in Loop: Header=BB4_77 Depth=1
	v_add_nc_u32_e32 v10, v10, v98
	s_mov_b32 s19, 0
	s_delay_alu instid0(VALU_DEP_1)
	v_ashrrev_i32_e32 v11, 31, v10
.LBB4_340:                              ;   Parent Loop BB4_77 Depth=1
                                        ; =>  This Inner Loop Header: Depth=2
	s_delay_alu instid0(VALU_DEP_1) | instskip(SKIP_1) | instid1(VALU_DEP_1)
	v_add_nc_u64_e32 v[112:113], v[86:87], v[10:11]
	v_dual_sub_nc_u32 v12, v12, v118 :: v_dual_sub_nc_u32 v102, v102, v36
	v_cmp_gt_i32_e64 s16, 16, v12
	global_load_b128 v[44:47], v[112:113], off th:TH_LOAD_NT
	s_wait_xcnt 0x0
	v_add_nc_u64_e32 v[112:113], v[96:97], v[10:11]
	v_add_nc_u64_e32 v[10:11], v[10:11], v[80:81]
	s_or_b32 s19, s16, s19
	s_wait_loadcnt 0x0
	global_store_b128 v[112:113], v[44:47], off th:TH_STORE_NT
	s_wait_xcnt 0x0
	s_and_not1_b32 exec_lo, exec_lo, s19
	s_cbranch_execnz .LBB4_340
; %bb.341:                              ;   in Loop: Header=BB4_77 Depth=1
	s_or_b32 exec_lo, exec_lo, s19
.LBB4_342:                              ;   in Loop: Header=BB4_77 Depth=1
	s_delay_alu instid0(SALU_CYCLE_1) | instskip(SKIP_3) | instid1(VALU_DEP_1)
	s_or_b32 exec_lo, exec_lo, s18
	v_dual_mov_b32 v12, 0 :: v_dual_bitop2_b32 v11, 15, v34 bitop3:0x40
	s_mov_b32 s18, 0
	s_mov_b32 s19, exec_lo
                                        ; implicit-def: $vgpr85
                                        ; implicit-def: $vgpr10
	v_cndmask_b32_e32 v13, v101, v11, vcc_lo
	s_delay_alu instid0(VALU_DEP_1)
	v_cmpx_ne_u32_e32 0, v13
	s_cbranch_execz .LBB4_344
; %bb.343:                              ;   in Loop: Header=BB4_77 Depth=1
	v_cmp_lt_i32_e64 s16, 0, v102
	s_mov_b32 s18, exec_lo
	v_dual_sub_nc_u32 v11, v101, v11 :: v_dual_cndmask_b32 v10, 0, v36, s16
	s_delay_alu instid0(VALU_DEP_1) | instskip(NEXT) | instid1(VALU_DEP_1)
	v_dual_cndmask_b32 v11, 0, v11 :: v_dual_sub_nc_u32 v10, v10, v102
	v_add3_u32 v12, v99, v98, v11
	s_delay_alu instid0(VALU_DEP_2) | instskip(NEXT) | instid1(VALU_DEP_1)
	v_lshl_add_u32 v85, v10, 5, v100
	v_ashrrev_i32_e32 v10, 31, v85
	s_delay_alu instid0(VALU_DEP_1) | instskip(NEXT) | instid1(VALU_DEP_1)
	v_lshrrev_b32_e32 v10, 27, v10
	v_add_nc_u32_e32 v10, v85, v10
	s_delay_alu instid0(VALU_DEP_1)
	v_ashrrev_i32_e32 v10, 5, v10
.LBB4_344:                              ;   in Loop: Header=BB4_77 Depth=1
	s_or_b32 exec_lo, exec_lo, s19
	s_delay_alu instid0(SALU_CYCLE_1)
	s_and_b32 s18, s18, exec_lo
.LBB4_345:                              ;   in Loop: Header=BB4_77 Depth=1
	s_or_b32 exec_lo, exec_lo, s17
.LBB4_346:                              ;   in Loop: Header=BB4_77 Depth=1
	s_and_saveexec_b32 s16, s18
	s_cbranch_execz .LBB4_355
; %bb.347:                              ;   in Loop: Header=BB4_77 Depth=1
	v_ashrrev_i32_e32 v11, 31, v13
	s_mov_b32 s17, exec_lo
	s_delay_alu instid0(VALU_DEP_1) | instskip(NEXT) | instid1(VALU_DEP_1)
	v_lshrrev_b32_e32 v11, 24, v11
	v_add_nc_u32_e32 v11, v13, v11
	s_delay_alu instid0(VALU_DEP_1) | instskip(NEXT) | instid1(VALU_DEP_1)
	v_dual_ashrrev_i32 v100, 8, v11 :: v_dual_ashrrev_i32 v11, 31, v85
	v_dual_sub_nc_u32 v98, v100, v10 :: v_dual_lshrrev_b32 v99, 27, v11
	s_delay_alu instid0(VALU_DEP_1)
	v_cmpx_lt_i32_e32 0, v98
	s_cbranch_execz .LBB4_351
; %bb.348:                              ;   in Loop: Header=BB4_77 Depth=1
	s_delay_alu instid0(VALU_DEP_2) | instskip(SKIP_1) | instid1(VALU_DEP_1)
	v_dual_add_nc_u32 v11, v85, v99 :: v_dual_lshlrev_b32 v10, 8, v10
	s_mov_b32 s18, 0
	v_and_b32_e32 v11, 0xffffffe0, v11
	s_delay_alu instid0(VALU_DEP_1) | instskip(NEXT) | instid1(VALU_DEP_1)
	v_sub_nc_u32_e32 v11, v85, v11
	v_add3_u32 v10, v12, v11, v10
	s_delay_alu instid0(VALU_DEP_1)
	v_ashrrev_i32_e32 v11, 31, v10
.LBB4_349:                              ;   Parent Loop BB4_77 Depth=1
                                        ; =>  This Inner Loop Header: Depth=2
	s_delay_alu instid0(VALU_DEP_1)
	v_add_nc_u64_e32 v[102:103], v[10:11], v[86:87]
	v_sub_nc_u32_e32 v98, v98, v36
	v_add_nc_u64_e32 v[86:87], v[86:87], v[54:55]
	s_clause 0x7
	flat_load_u8 v101, v[102:103] th:TH_LOAD_NT
	flat_load_u8 v112, v[102:103] offset:32 th:TH_LOAD_NT
	flat_load_u8 v113, v[102:103] offset:64 th:TH_LOAD_NT
	;; [unrolled: 1-line block ×7, first 2 shown]
	s_wait_xcnt 0x0
	v_add_nc_u64_e32 v[102:103], v[10:11], v[96:97]
	v_add_nc_u64_e32 v[96:97], v[96:97], v[54:55]
	v_cmp_gt_i32_e32 vcc_lo, 1, v98
	s_wait_loadcnt_dscnt 0x707
	flat_store_b8 v[102:103], v101 th:TH_STORE_NT
	s_wait_loadcnt_dscnt 0x607
	flat_store_b8 v[102:103], v112 offset:32 th:TH_STORE_NT
	s_wait_loadcnt_dscnt 0x507
	flat_store_b8 v[102:103], v113 offset:64 th:TH_STORE_NT
	;; [unrolled: 2-line block ×7, first 2 shown]
	s_or_b32 s18, vcc_lo, s18
	s_wait_xcnt 0x0
	s_and_not1_b32 exec_lo, exec_lo, s18
	s_cbranch_execnz .LBB4_349
; %bb.350:                              ;   in Loop: Header=BB4_77 Depth=1
	s_or_b32 exec_lo, exec_lo, s18
.LBB4_351:                              ;   in Loop: Header=BB4_77 Depth=1
	s_delay_alu instid0(SALU_CYCLE_1) | instskip(SKIP_1) | instid1(VALU_DEP_1)
	s_or_b32 exec_lo, exec_lo, s17
	v_lshlrev_b32_e32 v10, 8, v100
	v_cmp_ne_u32_e32 vcc_lo, v13, v10
	s_and_b32 exec_lo, exec_lo, vcc_lo
	s_cbranch_execz .LBB4_355
; %bb.352:                              ;   in Loop: Header=BB4_77 Depth=1
	v_add_nc_u32_e32 v11, v85, v99
	s_delay_alu instid0(VALU_DEP_1) | instskip(NEXT) | instid1(VALU_DEP_1)
	v_and_b32_e32 v11, 0xffffffe0, v11
	v_dual_sub_nc_u32 v11, v85, v11 :: v_dual_lshlrev_b32 v85, 5, v98
	s_delay_alu instid0(VALU_DEP_1) | instskip(NEXT) | instid1(VALU_DEP_1)
	v_sub_nc_u32_e32 v11, v11, v85
	v_add_nc_u32_e32 v86, v10, v11
	s_delay_alu instid0(VALU_DEP_1) | instskip(NEXT) | instid1(VALU_DEP_1)
	v_sub_nc_u32_e32 v85, v13, v86
	v_cmp_lt_i32_e32 vcc_lo, 0, v85
	s_and_b32 exec_lo, exec_lo, vcc_lo
	s_cbranch_execz .LBB4_355
; %bb.353:                              ;   in Loop: Header=BB4_77 Depth=1
	s_trap 2
	ds_load_b64 v[10:11], v0
	v_add_nc_u32_e32 v12, v86, v12
	s_mov_b32 s17, 0
	s_delay_alu instid0(VALU_DEP_1)
	v_ashrrev_i32_e32 v13, 31, v12
.LBB4_354:                              ;   Parent Loop BB4_77 Depth=1
                                        ; =>  This Inner Loop Header: Depth=2
	s_wait_dscnt 0x0
	s_delay_alu instid0(VALU_DEP_1) | instskip(SKIP_2) | instid1(VALU_DEP_2)
	v_add_nc_u64_e32 v[86:87], v[10:11], v[12:13]
	v_sub_nc_u32_e32 v85, v85, v1
	v_add_nc_u64_e32 v[12:13], v[12:13], v[70:71]
	v_cmp_gt_i32_e32 vcc_lo, 1, v85
	flat_load_u8 v96, v[86:87] th:TH_LOAD_NT
	s_or_b32 s17, vcc_lo, s17
	s_wait_loadcnt_dscnt 0x0
	flat_store_b8 v[86:87], v96 th:TH_STORE_NT
	s_wait_xcnt 0x0
	s_and_not1_b32 exec_lo, exec_lo, s17
	s_cbranch_execnz .LBB4_354
.LBB4_355:                              ;   in Loop: Header=BB4_77 Depth=1
	s_or_b32 exec_lo, exec_lo, s16
.LBB4_356:                              ;   in Loop: Header=BB4_77 Depth=1
	v_cmp_lt_i32_e64 s16, 0, v34
	s_and_saveexec_b32 s17, s3
	s_cbranch_execnz .LBB4_358
	s_branch .LBB4_399
.LBB4_357:                              ;   in Loop: Header=BB4_77 Depth=1
	s_mov_b32 s16, 0
	s_and_saveexec_b32 s17, s3
	s_cbranch_execz .LBB4_399
.LBB4_358:                              ;   in Loop: Header=BB4_77 Depth=1
	s_and_saveexec_b32 s18, s4
	s_delay_alu instid0(SALU_CYCLE_1)
	s_xor_b32 s18, exec_lo, s18
	s_cbranch_execz .LBB4_396
; %bb.359:                              ;   in Loop: Header=BB4_77 Depth=1
	s_and_saveexec_b32 s19, s7
	s_cbranch_execz .LBB4_395
; %bb.360:                              ;   in Loop: Header=BB4_77 Depth=1
	s_mov_b32 s21, exec_lo
	s_mov_b32 s20, exec_lo
	v_mbcnt_lo_u32_b32 v10, s21, 0
	global_wb scope:SCOPE_DEV
	s_wait_storecnt 0x0
	s_wait_loadcnt_dscnt 0x0
	global_inv scope:SCOPE_DEV
	v_cmpx_eq_u32_e32 0, v10
	s_cbranch_execz .LBB4_362
; %bb.361:                              ;   in Loop: Header=BB4_77 Depth=1
	s_bcnt1_i32_b32 s21, s21
	s_delay_alu instid0(SALU_CYCLE_1)
	v_mov_b32_e32 v34, s21
	s_wait_loadcnt 0x0
	ds_add_u64 v0, v[34:35]
	s_trap 2
.LBB4_362:                              ;   in Loop: Header=BB4_77 Depth=1
	s_or_b32 exec_lo, exec_lo, s20
	s_trap 2
	ds_load_b64 v[10:11], v0
	s_wait_dscnt 0x0
	v_add_nc_u64_e32 v[26:27], v[26:27], v[36:37]
	s_mov_b32 s20, exec_lo
	s_delay_alu instid0(VALU_DEP_1)
	v_cmpx_lt_u64_e64 v[10:11], v[26:27]
	s_cbranch_execz .LBB4_394
; %bb.363:                              ;   in Loop: Header=BB4_77 Depth=1
	s_mov_b32 s21, 0
	s_mov_b32 s46, 0
                                        ; implicit-def: $sgpr44
                                        ; implicit-def: $sgpr45
	s_branch .LBB4_365
.LBB4_364:                              ;   in Loop: Header=BB4_365 Depth=2
	s_or_b32 exec_lo, exec_lo, s56
	s_delay_alu instid0(SALU_CYCLE_1) | instskip(NEXT) | instid1(SALU_CYCLE_1)
	s_and_b32 s47, exec_lo, s57
	s_or_b32 s21, s47, s21
	s_and_not1_b32 s44, s44, exec_lo
	s_and_b32 s47, s45, exec_lo
	s_delay_alu instid0(SALU_CYCLE_1)
	s_or_b32 s44, s44, s47
	s_and_not1_b32 exec_lo, exec_lo, s21
	s_cbranch_execz .LBB4_392
.LBB4_365:                              ;   Parent Loop BB4_77 Depth=1
                                        ; =>  This Inner Loop Header: Depth=2
	s_add_co_i32 s46, s46, 1
	s_delay_alu instid0(SALU_CYCLE_1) | instskip(SKIP_1) | instid1(SALU_CYCLE_1)
	s_cmp_lg_u32 s46, 0x2710
	s_cselect_b32 s47, -1, 0
	s_and_b32 vcc_lo, exec_lo, s47
	s_cbranch_vccz .LBB4_367
; %bb.366:                              ;   in Loop: Header=BB4_365 Depth=2
	s_mov_b32 s57, -1
	s_or_b32 s45, s45, exec_lo
	s_and_saveexec_b32 s56, s47
	s_cbranch_execz .LBB4_364
	s_branch .LBB4_368
.LBB4_367:                              ;   in Loop: Header=BB4_365 Depth=2
	s_trap 2
	ds_load_b64 v[10:11], v0
	s_and_not1_b32 s47, s47, exec_lo
	s_mov_b32 s46, 0
	s_wait_loadcnt_dscnt 0x0
	flat_load_b32 v10, v[10:11] scope:SCOPE_SYS
	s_wait_loadcnt_dscnt 0x0
	global_inv scope:SCOPE_SYS
	v_cmp_eq_u32_e32 vcc_lo, 0, v10
	s_and_b32 s56, vcc_lo, exec_lo
	s_delay_alu instid0(SALU_CYCLE_1)
	s_or_b32 s47, s47, s56
	s_mov_b32 s57, -1
	s_or_b32 s45, s45, exec_lo
	s_and_saveexec_b32 s56, s47
	s_cbranch_execz .LBB4_364
.LBB4_368:                              ;   in Loop: Header=BB4_365 Depth=2
	s_sleep 1
	s_trap 2
	ds_load_b64 v[10:11], v0
	s_wait_dscnt 0x0
	s_and_not1_b32 s45, s45, exec_lo
	v_cmp_ge_u64_e32 vcc_lo, v[10:11], v[26:27]
	s_or_not1_b32 s57, vcc_lo, exec_lo
	s_branch .LBB4_364
.LBB4_369:                              ;   in Loop: Header=BB4_77 Depth=1
	s_or_b32 exec_lo, exec_lo, s21
	s_and_saveexec_b32 s21, s43
	s_delay_alu instid0(SALU_CYCLE_1)
	s_xor_b32 s21, exec_lo, s21
	s_cbranch_execz .LBB4_371
; %bb.370:                              ;   in Loop: Header=BB4_77 Depth=1
	ds_store_b32 v0, v116
	s_trap 2
.LBB4_371:                              ;   in Loop: Header=BB4_77 Depth=1
	s_or_b32 exec_lo, exec_lo, s20
	;;#ASMSTART
	s_wakeup
	;;#ASMEND
.LBB4_372:                              ;   in Loop: Header=BB4_77 Depth=1
	s_or_b32 exec_lo, exec_lo, s19
.LBB4_373:                              ;   in Loop: Header=BB4_77 Depth=1
	s_and_not1_saveexec_b32 s18, s18
	s_cbranch_execz .LBB4_375
; %bb.374:                              ;   in Loop: Header=BB4_77 Depth=1
	global_wb scope:SCOPE_DEV
	s_wait_storecnt 0x0
	s_wait_loadcnt_dscnt 0x0
	global_inv scope:SCOPE_DEV
	s_barrier_signal -1
	s_barrier_wait -1
.LBB4_375:                              ;   in Loop: Header=BB4_77 Depth=1
	s_or_b32 exec_lo, exec_lo, s18
.LBB4_376:                              ;   in Loop: Header=BB4_77 Depth=1
	s_delay_alu instid0(SALU_CYCLE_1) | instskip(SKIP_2) | instid1(SALU_CYCLE_1)
	s_or_b32 exec_lo, exec_lo, s17
	v_and_b32_e32 v10, 16, v114
	s_and_saveexec_b32 s17, s11
	s_xor_b32 s17, exec_lo, s17
	s_cbranch_execz .LBB4_380
; %bb.377:                              ;   in Loop: Header=BB4_77 Depth=1
	v_and_b32_e32 v10, 16, v114
	s_delay_alu instid0(VALU_DEP_1) | instskip(SKIP_2) | instid1(SALU_CYCLE_1)
	v_cmp_ne_u32_e32 vcc_lo, 0, v10
	v_and_b32_e32 v10, 16, v114
	s_and_b32 s18, vcc_lo, s16
	s_and_saveexec_b32 s16, s18
	s_cbranch_execz .LBB4_379
; %bb.378:                              ;   in Loop: Header=BB4_77 Depth=1
	v_mov_b32_e32 v10, 1
	global_wb scope:SCOPE_SYS
	s_wait_storecnt 0x0
	s_wait_loadcnt_dscnt 0x0
	global_inv scope:SCOPE_SYS
.LBB4_379:                              ;   in Loop: Header=BB4_77 Depth=1
	s_or_b32 exec_lo, exec_lo, s16
.LBB4_380:                              ;   in Loop: Header=BB4_77 Depth=1
	s_and_not1_saveexec_b32 s16, s17
	s_cbranch_execz .LBB4_422
; %bb.381:                              ;   in Loop: Header=BB4_77 Depth=1
	s_and_saveexec_b32 s17, s4
	s_delay_alu instid0(SALU_CYCLE_1)
	s_xor_b32 s17, exec_lo, s17
	s_cbranch_execz .LBB4_419
; %bb.382:                              ;   in Loop: Header=BB4_77 Depth=1
	s_and_saveexec_b32 s18, s7
	s_cbranch_execz .LBB4_418
; %bb.383:                              ;   in Loop: Header=BB4_77 Depth=1
	s_mov_b32 s20, exec_lo
	s_mov_b32 s19, exec_lo
	v_mbcnt_lo_u32_b32 v11, s20, 0
	;;#ASMSTART
	s_waitcnt lgkmcnt(0) vmcnt(0)
	;;#ASMEND
	s_delay_alu instid0(VALU_DEP_1)
	v_cmpx_eq_u32_e32 0, v11
	s_cbranch_execz .LBB4_385
; %bb.384:                              ;   in Loop: Header=BB4_77 Depth=1
	s_bcnt1_i32_b32 s20, s20
	s_delay_alu instid0(SALU_CYCLE_1)
	v_mov_b32_e32 v34, s20
	s_wait_storecnt 0x0
	s_wait_loadcnt_dscnt 0x0
	ds_add_u64 v0, v[34:35]
	s_trap 2
.LBB4_385:                              ;   in Loop: Header=BB4_77 Depth=1
	s_or_b32 exec_lo, exec_lo, s19
	s_trap 2
	ds_load_b64 v[12:13], v0
	s_wait_dscnt 0x0
	v_add_nc_u64_e32 v[26:27], v[26:27], v[36:37]
	s_mov_b32 s19, exec_lo
	s_delay_alu instid0(VALU_DEP_1)
	v_cmpx_lt_u64_e64 v[12:13], v[26:27]
	s_cbranch_execz .LBB4_417
; %bb.386:                              ;   in Loop: Header=BB4_77 Depth=1
	s_mov_b32 s20, 0
	s_mov_b32 s44, 0
                                        ; implicit-def: $sgpr21
                                        ; implicit-def: $sgpr43
	s_branch .LBB4_388
.LBB4_387:                              ;   in Loop: Header=BB4_388 Depth=2
	s_or_b32 exec_lo, exec_lo, s46
	s_delay_alu instid0(SALU_CYCLE_1) | instskip(NEXT) | instid1(SALU_CYCLE_1)
	s_and_b32 s45, exec_lo, s47
	s_or_b32 s20, s45, s20
	s_and_not1_b32 s21, s21, exec_lo
	s_and_b32 s45, s43, exec_lo
	s_delay_alu instid0(SALU_CYCLE_1)
	s_or_b32 s21, s21, s45
	s_and_not1_b32 exec_lo, exec_lo, s20
	s_cbranch_execz .LBB4_415
.LBB4_388:                              ;   Parent Loop BB4_77 Depth=1
                                        ; =>  This Inner Loop Header: Depth=2
	s_add_co_i32 s44, s44, 1
	s_delay_alu instid0(SALU_CYCLE_1) | instskip(SKIP_1) | instid1(SALU_CYCLE_1)
	s_cmp_lg_u32 s44, 0x2710
	s_cselect_b32 s45, -1, 0
	s_and_b32 vcc_lo, exec_lo, s45
	s_cbranch_vccz .LBB4_390
; %bb.389:                              ;   in Loop: Header=BB4_388 Depth=2
	s_mov_b32 s47, -1
	s_or_b32 s43, s43, exec_lo
	s_and_saveexec_b32 s46, s45
	s_cbranch_execz .LBB4_387
	s_branch .LBB4_391
.LBB4_390:                              ;   in Loop: Header=BB4_388 Depth=2
	s_trap 2
	ds_load_b64 v[12:13], v0
	s_and_not1_b32 s45, s45, exec_lo
	s_mov_b32 s44, 0
	s_wait_storecnt 0x0
	s_wait_loadcnt_dscnt 0x0
	flat_load_b32 v11, v[12:13] scope:SCOPE_SYS
	s_wait_loadcnt_dscnt 0x0
	global_inv scope:SCOPE_SYS
	v_cmp_eq_u32_e32 vcc_lo, 0, v11
	s_and_b32 s46, vcc_lo, exec_lo
	s_delay_alu instid0(SALU_CYCLE_1)
	s_or_b32 s45, s45, s46
	s_mov_b32 s47, -1
	s_or_b32 s43, s43, exec_lo
	s_and_saveexec_b32 s46, s45
	s_cbranch_execz .LBB4_387
.LBB4_391:                              ;   in Loop: Header=BB4_388 Depth=2
	s_sleep 1
	s_trap 2
	ds_load_b64 v[12:13], v0
	s_wait_dscnt 0x0
	s_and_not1_b32 s43, s43, exec_lo
	v_cmp_ge_u64_e32 vcc_lo, v[12:13], v[26:27]
	s_or_not1_b32 s47, vcc_lo, exec_lo
	s_branch .LBB4_387
.LBB4_392:                              ;   in Loop: Header=BB4_77 Depth=1
	s_or_b32 exec_lo, exec_lo, s21
	s_and_saveexec_b32 s21, s44
	s_delay_alu instid0(SALU_CYCLE_1)
	s_xor_b32 s21, exec_lo, s21
	s_cbranch_execz .LBB4_394
; %bb.393:                              ;   in Loop: Header=BB4_77 Depth=1
	ds_store_b32 v0, v116
	s_trap 2
.LBB4_394:                              ;   in Loop: Header=BB4_77 Depth=1
	s_or_b32 exec_lo, exec_lo, s20
	;;#ASMSTART
	s_wakeup
	;;#ASMEND
.LBB4_395:                              ;   in Loop: Header=BB4_77 Depth=1
	s_or_b32 exec_lo, exec_lo, s19
.LBB4_396:                              ;   in Loop: Header=BB4_77 Depth=1
	s_and_not1_saveexec_b32 s18, s18
	s_cbranch_execz .LBB4_398
; %bb.397:                              ;   in Loop: Header=BB4_77 Depth=1
	global_wb scope:SCOPE_DEV
	s_wait_storecnt 0x0
	s_wait_loadcnt_dscnt 0x0
	global_inv scope:SCOPE_DEV
	s_barrier_signal -1
	s_barrier_wait -1
.LBB4_398:                              ;   in Loop: Header=BB4_77 Depth=1
	s_or_b32 exec_lo, exec_lo, s18
.LBB4_399:                              ;   in Loop: Header=BB4_77 Depth=1
	s_delay_alu instid0(SALU_CYCLE_1) | instskip(SKIP_2) | instid1(SALU_CYCLE_1)
	s_or_b32 exec_lo, exec_lo, s17
	v_and_b32_e32 v10, 16, v114
	s_and_saveexec_b32 s17, s11
	s_xor_b32 s17, exec_lo, s17
	s_cbranch_execz .LBB4_403
; %bb.400:                              ;   in Loop: Header=BB4_77 Depth=1
	v_and_b32_e32 v10, 16, v114
	s_delay_alu instid0(VALU_DEP_1) | instskip(SKIP_2) | instid1(SALU_CYCLE_1)
	v_cmp_ne_u32_e32 vcc_lo, 0, v10
	v_and_b32_e32 v10, 16, v114
	s_and_b32 s18, vcc_lo, s16
	s_and_saveexec_b32 s16, s18
	s_cbranch_execz .LBB4_402
; %bb.401:                              ;   in Loop: Header=BB4_77 Depth=1
	v_mov_b32_e32 v10, 1
	global_wb scope:SCOPE_SYS
	s_wait_storecnt 0x0
	s_wait_loadcnt_dscnt 0x0
	global_inv scope:SCOPE_SYS
.LBB4_402:                              ;   in Loop: Header=BB4_77 Depth=1
	s_or_b32 exec_lo, exec_lo, s16
.LBB4_403:                              ;   in Loop: Header=BB4_77 Depth=1
	s_and_not1_saveexec_b32 s16, s17
	s_cbranch_execz .LBB4_473
; %bb.404:                              ;   in Loop: Header=BB4_77 Depth=1
	s_and_saveexec_b32 s17, s4
	s_delay_alu instid0(SALU_CYCLE_1)
	s_xor_b32 s17, exec_lo, s17
	s_cbranch_execz .LBB4_470
; %bb.405:                              ;   in Loop: Header=BB4_77 Depth=1
	s_and_saveexec_b32 s18, s7
	s_cbranch_execz .LBB4_469
; %bb.406:                              ;   in Loop: Header=BB4_77 Depth=1
	s_mov_b32 s20, exec_lo
	s_mov_b32 s19, exec_lo
	v_mbcnt_lo_u32_b32 v11, s20, 0
	;;#ASMSTART
	s_waitcnt lgkmcnt(0) vmcnt(0)
	;;#ASMEND
	s_delay_alu instid0(VALU_DEP_1)
	v_cmpx_eq_u32_e32 0, v11
	s_cbranch_execz .LBB4_408
; %bb.407:                              ;   in Loop: Header=BB4_77 Depth=1
	s_bcnt1_i32_b32 s20, s20
	s_delay_alu instid0(SALU_CYCLE_1)
	v_mov_b32_e32 v34, s20
	s_wait_storecnt 0x0
	s_wait_loadcnt_dscnt 0x0
	ds_add_u64 v0, v[34:35]
	s_trap 2
.LBB4_408:                              ;   in Loop: Header=BB4_77 Depth=1
	s_or_b32 exec_lo, exec_lo, s19
	s_trap 2
	ds_load_b64 v[12:13], v0
	s_wait_dscnt 0x0
	v_add_nc_u64_e32 v[26:27], v[26:27], v[36:37]
	s_mov_b32 s19, exec_lo
	s_delay_alu instid0(VALU_DEP_1)
	v_cmpx_lt_u64_e64 v[12:13], v[26:27]
	s_cbranch_execz .LBB4_468
; %bb.409:                              ;   in Loop: Header=BB4_77 Depth=1
	s_mov_b32 s20, 0
	s_mov_b32 s45, 0
                                        ; implicit-def: $sgpr21
                                        ; implicit-def: $sgpr44
	s_branch .LBB4_411
.LBB4_410:                              ;   in Loop: Header=BB4_411 Depth=2
	s_or_b32 exec_lo, exec_lo, s47
	s_delay_alu instid0(SALU_CYCLE_1) | instskip(NEXT) | instid1(SALU_CYCLE_1)
	s_and_b32 s46, exec_lo, s56
	s_or_b32 s20, s46, s20
	s_and_not1_b32 s21, s21, exec_lo
	s_and_b32 s46, s44, exec_lo
	s_delay_alu instid0(SALU_CYCLE_1)
	s_or_b32 s21, s21, s46
	s_and_not1_b32 exec_lo, exec_lo, s20
	s_cbranch_execz .LBB4_466
.LBB4_411:                              ;   Parent Loop BB4_77 Depth=1
                                        ; =>  This Inner Loop Header: Depth=2
	s_add_co_i32 s45, s45, 1
	s_delay_alu instid0(SALU_CYCLE_1) | instskip(SKIP_1) | instid1(SALU_CYCLE_1)
	s_cmp_lg_u32 s45, 0x2710
	s_cselect_b32 s46, -1, 0
	s_and_b32 vcc_lo, exec_lo, s46
	s_cbranch_vccz .LBB4_413
; %bb.412:                              ;   in Loop: Header=BB4_411 Depth=2
	s_mov_b32 s56, -1
	s_or_b32 s44, s44, exec_lo
	s_and_saveexec_b32 s47, s46
	s_cbranch_execz .LBB4_410
	s_branch .LBB4_414
.LBB4_413:                              ;   in Loop: Header=BB4_411 Depth=2
	s_trap 2
	ds_load_b64 v[12:13], v0
	s_and_not1_b32 s46, s46, exec_lo
	s_mov_b32 s45, 0
	s_wait_storecnt 0x0
	s_wait_loadcnt_dscnt 0x0
	flat_load_b32 v11, v[12:13] scope:SCOPE_SYS
	s_wait_loadcnt_dscnt 0x0
	global_inv scope:SCOPE_SYS
	v_cmp_eq_u32_e32 vcc_lo, 0, v11
	s_and_b32 s47, vcc_lo, exec_lo
	s_delay_alu instid0(SALU_CYCLE_1)
	s_or_b32 s46, s46, s47
	s_mov_b32 s56, -1
	s_or_b32 s44, s44, exec_lo
	s_and_saveexec_b32 s47, s46
	s_cbranch_execz .LBB4_410
.LBB4_414:                              ;   in Loop: Header=BB4_411 Depth=2
	s_sleep 1
	s_trap 2
	ds_load_b64 v[12:13], v0
	s_wait_dscnt 0x0
	s_and_not1_b32 s44, s44, exec_lo
	v_cmp_ge_u64_e32 vcc_lo, v[12:13], v[26:27]
	s_or_not1_b32 s56, vcc_lo, exec_lo
	s_branch .LBB4_410
.LBB4_415:                              ;   in Loop: Header=BB4_77 Depth=1
	s_or_b32 exec_lo, exec_lo, s20
	s_and_saveexec_b32 s20, s21
	s_delay_alu instid0(SALU_CYCLE_1)
	s_xor_b32 s20, exec_lo, s20
	s_cbranch_execz .LBB4_417
; %bb.416:                              ;   in Loop: Header=BB4_77 Depth=1
	ds_store_b32 v0, v116
	s_trap 2
.LBB4_417:                              ;   in Loop: Header=BB4_77 Depth=1
	s_or_b32 exec_lo, exec_lo, s19
	;;#ASMSTART
	s_wakeup
	;;#ASMEND
.LBB4_418:                              ;   in Loop: Header=BB4_77 Depth=1
	s_or_b32 exec_lo, exec_lo, s18
.LBB4_419:                              ;   in Loop: Header=BB4_77 Depth=1
	s_and_not1_saveexec_b32 s17, s17
	s_cbranch_execz .LBB4_421
; %bb.420:                              ;   in Loop: Header=BB4_77 Depth=1
	;;#ASMSTART
	s_waitcnt lgkmcnt(0) vmcnt(0)
	;;#ASMEND
	s_barrier_signal -1
	s_barrier_wait -1
.LBB4_421:                              ;   in Loop: Header=BB4_77 Depth=1
	s_or_b32 exec_lo, exec_lo, s17
.LBB4_422:                              ;   in Loop: Header=BB4_77 Depth=1
	s_delay_alu instid0(SALU_CYCLE_1) | instskip(SKIP_2) | instid1(SALU_CYCLE_1)
	s_or_b32 exec_lo, exec_lo, s16
	v_cmp_ne_u32_e32 vcc_lo, 0, v10
	s_xor_b32 s16, s5, -1
	s_and_b32 s17, vcc_lo, s16
	s_delay_alu instid0(SALU_CYCLE_1)
	s_and_saveexec_b32 s16, s17
	s_cbranch_execz .LBB4_424
; %bb.423:                              ;   in Loop: Header=BB4_77 Depth=1
	global_wb scope:SCOPE_SYS
	s_wait_storecnt 0x0
	s_wait_loadcnt_dscnt 0x0
	flat_store_b32 v[28:29], v116 scope:SCOPE_SYS
.LBB4_424:                              ;   in Loop: Header=BB4_77 Depth=1
	s_wait_xcnt 0x0
	s_or_b32 exec_lo, exec_lo, s16
	v_and_b32_e32 v10, 48, v114
	s_mov_b32 s16, exec_lo
	s_delay_alu instid0(VALU_DEP_1)
	v_cmpx_ne_u32_e32 0, v10
	s_cbranch_execz .LBB4_426
; %bb.425:                              ;   in Loop: Header=BB4_77 Depth=1
	v_add_nc_u64_e32 v[8:9], 1, v[8:9]
	global_wb scope:SCOPE_SYS
	s_wait_storecnt 0x0
	s_wait_loadcnt_dscnt 0x0
	flat_store_b64 v[20:21], v[8:9] scope:SCOPE_SYS
.LBB4_426:                              ;   in Loop: Header=BB4_77 Depth=1
	s_wait_xcnt 0x0
	s_or_b32 exec_lo, exec_lo, s16
	v_mov_b32_e32 v12, v84
.LBB4_427:                              ;   in Loop: Header=BB4_77 Depth=1
	s_or_b32 exec_lo, exec_lo, s42
	s_mov_b32 s16, 0
	s_and_saveexec_b32 s17, s14
	s_cbranch_execz .LBB4_569
; %bb.428:                              ;   in Loop: Header=BB4_77 Depth=1
	v_dual_sub_nc_u32 v10, v42, v12 :: v_dual_bitop2_b32 v11, 12, v114 bitop3:0x40
	s_mov_b32 s18, exec_lo
	s_delay_alu instid0(VALU_DEP_1) | instskip(NEXT) | instid1(VALU_DEP_2)
	v_min_i32_e32 v10, v84, v10
	v_cmpx_ne_u32_e32 0, v11
	s_cbranch_execz .LBB4_454
; %bb.429:                              ;   in Loop: Header=BB4_77 Depth=1
	v_and_b32_e32 v34, 8, v114
	v_add_nc_u64_e32 v[12:13], 1, v[8:9]
	s_mov_b32 s19, exec_lo
	s_wait_loadcnt_dscnt 0x1
	s_delay_alu instid0(VALU_DEP_2) | instskip(NEXT) | instid1(VALU_DEP_1)
	v_add_nc_u64_e32 v[84:85], v[32:33], v[34:35]
	v_cmpx_lt_u64_e64 v[84:85], v[12:13]
	s_cbranch_execz .LBB4_441
; %bb.430:                              ;   in Loop: Header=BB4_77 Depth=1
	v_and_b32_e32 v9, 64, v114
	s_mov_b32 s20, 0
	s_mov_b32 s44, 0
                                        ; implicit-def: $sgpr21
                                        ; implicit-def: $sgpr42
                                        ; implicit-def: $sgpr43
	s_delay_alu instid0(VALU_DEP_1)
	v_cmp_eq_u32_e32 vcc_lo, 0, v9
	s_branch .LBB4_434
.LBB4_431:                              ;   in Loop: Header=BB4_434 Depth=2
	s_wait_loadcnt_dscnt 0x0
	v_add_nc_u64_e32 v[84:85], v[32:33], v[34:35]
	s_or_b32 s47, s47, exec_lo
	s_delay_alu instid0(VALU_DEP_1)
	v_cmp_ge_u64_e64 s16, v[84:85], v[12:13]
	s_or_not1_b32 s46, s16, exec_lo
.LBB4_432:                              ;   in Loop: Header=BB4_434 Depth=2
	s_or_b32 exec_lo, exec_lo, s57
	s_delay_alu instid0(SALU_CYCLE_1)
	s_and_not1_b32 s16, s43, exec_lo
	s_and_b32 s43, s47, exec_lo
	s_and_not1_b32 s42, s42, exec_lo
	s_and_b32 s46, s46, exec_lo
	s_or_b32 s43, s16, s43
	s_or_b32 s42, s42, s46
.LBB4_433:                              ;   in Loop: Header=BB4_434 Depth=2
	s_or_b32 exec_lo, exec_lo, s45
	s_delay_alu instid0(SALU_CYCLE_1) | instskip(NEXT) | instid1(SALU_CYCLE_1)
	s_and_b32 s16, exec_lo, s42
	s_or_b32 s20, s16, s20
	s_and_not1_b32 s16, s21, exec_lo
	s_and_b32 s21, s43, exec_lo
	s_delay_alu instid0(SALU_CYCLE_1)
	s_or_b32 s21, s16, s21
	s_and_not1_b32 exec_lo, exec_lo, s20
	s_cbranch_execz .LBB4_438
.LBB4_434:                              ;   Parent Loop BB4_77 Depth=1
                                        ; =>  This Inner Loop Header: Depth=2
	s_sleep 1
	s_wait_loadcnt_dscnt 0x0
	flat_load_b64 v[32:33], v[20:21] scope:SCOPE_SYS
	s_or_b32 s43, s43, exec_lo
	s_or_b32 s42, s42, exec_lo
                                        ; implicit-def: $vgpr9
	s_wait_xcnt 0x0
	s_and_saveexec_b32 s45, vcc_lo
	s_cbranch_execz .LBB4_433
; %bb.435:                              ;   in Loop: Header=BB4_434 Depth=2
	s_cmp_lt_i32 s44, 0x270f
	s_mov_b32 s46, -1
	s_cselect_b32 s56, -1, 0
	s_cmp_gt_i32 s44, 0x270e
	s_cbranch_scc0 .LBB4_437
; %bb.436:                              ;   in Loop: Header=BB4_434 Depth=2
	s_trap 2
	ds_load_b64 v[84:85], v0
	s_and_not1_b32 s44, s56, exec_lo
	s_mov_b32 s47, 0
	s_wait_storecnt 0x0
	s_wait_loadcnt_dscnt 0x0
	flat_load_b32 v9, v[84:85] scope:SCOPE_SYS
	s_wait_loadcnt_dscnt 0x0
	global_inv scope:SCOPE_SYS
	v_cmp_eq_u32_e64 s16, 0, v9
	s_and_b32 s16, s16, exec_lo
	s_delay_alu instid0(SALU_CYCLE_1)
	s_or_b32 s56, s44, s16
	s_mov_b32 s44, 0
	s_and_saveexec_b32 s57, s56
	s_cbranch_execz .LBB4_432
	s_branch .LBB4_431
.LBB4_437:                              ;   in Loop: Header=BB4_434 Depth=2
	s_add_co_i32 s44, s44, 1
	s_mov_b32 s47, -1
                                        ; implicit-def: $vgpr9
	s_and_saveexec_b32 s57, s56
	s_cbranch_execz .LBB4_432
	s_branch .LBB4_431
.LBB4_438:                              ;   in Loop: Header=BB4_77 Depth=1
	s_or_b32 exec_lo, exec_lo, s20
	s_xor_b32 s16, s21, -1
	s_delay_alu instid0(SALU_CYCLE_1) | instskip(NEXT) | instid1(SALU_CYCLE_1)
	s_and_saveexec_b32 s20, s16
	s_xor_b32 s16, exec_lo, s20
	s_cbranch_execz .LBB4_440
; %bb.439:                              ;   in Loop: Header=BB4_77 Depth=1
	v_or_b32_e32 v114, 64, v114
	s_wait_storecnt 0x0
	s_wait_loadcnt_dscnt 0x0
	ds_store_b32 v0, v9
	s_trap 2
.LBB4_440:                              ;   in Loop: Header=BB4_77 Depth=1
	s_or_b32 exec_lo, exec_lo, s16
.LBB4_441:                              ;   in Loop: Header=BB4_77 Depth=1
	s_delay_alu instid0(SALU_CYCLE_1) | instskip(SKIP_3) | instid1(VALU_DEP_1)
	s_or_b32 exec_lo, exec_lo, s19
	v_and_b32_e32 v9, 0x108, v114
	s_mov_b32 s16, exec_lo
	;;#ASMSTART
	s_wakeup
	;;#ASMEND
                                        ; implicit-def: $vgpr84_vgpr85
	v_cmpx_ne_u32_e32 0x108, v9
	s_xor_b32 s16, exec_lo, s16
; %bb.442:                              ;   in Loop: Header=BB4_77 Depth=1
	v_dual_mov_b32 v85, v35 :: v_dual_bitop2_b32 v84, 7, v8 bitop3:0x40
; %bb.443:                              ;   in Loop: Header=BB4_77 Depth=1
	s_and_not1_saveexec_b32 s16, s16
	s_cbranch_execz .LBB4_445
; %bb.444:                              ;   in Loop: Header=BB4_77 Depth=1
	v_dual_ashrrev_i32 v11, 31, v10 :: v_dual_bitop2_b32 v84, 7, v8 bitop3:0x40
	v_mov_b32_e32 v85, v35
	s_delay_alu instid0(VALU_DEP_2)
	v_mad_nc_u64_u32 v[8:9], v84, 24, v[6:7]
	flat_store_b64 v[8:9], v[10:11] offset:8
.LBB4_445:                              ;   in Loop: Header=BB4_77 Depth=1
	s_wait_xcnt 0x0
	s_or_b32 exec_lo, exec_lo, s16
	v_and_b32_e32 v8, 0x100, v114
	s_mov_b32 s16, -1
	s_delay_alu instid0(VALU_DEP_1)
	v_cmp_ne_u32_e32 vcc_lo, 0, v8
                                        ; implicit-def: $vgpr8_vgpr9
	s_and_saveexec_b32 s19, vcc_lo
	s_cbranch_execz .LBB4_449
; %bb.446:                              ;   in Loop: Header=BB4_77 Depth=1
	v_mad_nc_u64_u32 v[86:87], v84, 24, v[6:7]
	s_delay_alu instid0(VALU_DEP_1)
	v_mad_u32 v87, v85, 24, v87
	flat_load_b32 v8, v[86:87]
	s_wait_loadcnt_dscnt 0x0
	v_cmp_eq_u32_e64 s16, 1, v8
	v_cmp_ne_u32_e32 vcc_lo, 1, v8
                                        ; implicit-def: $vgpr8_vgpr9
	s_wait_xcnt 0x0
	s_and_saveexec_b32 s20, s16
	s_cbranch_execz .LBB4_448
; %bb.447:                              ;   in Loop: Header=BB4_77 Depth=1
	flat_load_b32 v8, v[86:87] offset:4 scope:SCOPE_SYS
	s_wait_loadcnt_dscnt 0x0
	v_ashrrev_i32_e32 v9, 31, v8
.LBB4_448:                              ;   in Loop: Header=BB4_77 Depth=1
	s_wait_xcnt 0x0
	s_or_b32 exec_lo, exec_lo, s20
	s_delay_alu instid0(SALU_CYCLE_1)
	s_or_not1_b32 s16, vcc_lo, exec_lo
.LBB4_449:                              ;   in Loop: Header=BB4_77 Depth=1
	s_or_b32 exec_lo, exec_lo, s19
	s_and_saveexec_b32 s19, s16
; %bb.450:                              ;   in Loop: Header=BB4_77 Depth=1
	v_mul_u64_e32 v[8:9], v[84:85], v[22:23]
; %bb.451:                              ;   in Loop: Header=BB4_77 Depth=1
	s_or_b32 exec_lo, exec_lo, s19
	v_cmp_eq_u32_e32 vcc_lo, 0, v34
	s_delay_alu instid0(VALU_DEP_2) | instskip(SKIP_3) | instid1(VALU_DEP_1)
	v_add_nc_u64_e32 v[8:9], v[24:25], v[8:9]
	v_and_b32_e32 v34, 0x2000, v114
	s_mov_b32 s16, exec_lo
	v_cndmask_b32_e32 v11, 0xd0, v117, vcc_lo
	v_add_nc_u32_e32 v11, v0, v11
	ds_store_b64 v11, v[8:9] offset:584
	v_cmpx_ne_u32_e32 0, v34
	s_cbranch_execz .LBB4_453
; %bb.452:                              ;   in Loop: Header=BB4_77 Depth=1
	ds_load_b64 v[8:9], v0 offset:872
	s_wait_dscnt 0x0
	v_add_nc_u64_e32 v[8:9], 1, v[8:9]
	ds_store_b64 v0, v[8:9] offset:872
.LBB4_453:                              ;   in Loop: Header=BB4_77 Depth=1
	s_or_b32 exec_lo, exec_lo, s16
	v_mov_b64_e32 v[8:9], v[12:13]
.LBB4_454:                              ;   in Loop: Header=BB4_77 Depth=1
	s_or_b32 exec_lo, exec_lo, s18
	s_and_saveexec_b32 s16, s3
	s_cbranch_execz .LBB4_520
; %bb.455:                              ;   in Loop: Header=BB4_77 Depth=1
	s_and_saveexec_b32 s18, s4
	s_delay_alu instid0(SALU_CYCLE_1)
	s_xor_b32 s18, exec_lo, s18
	s_cbranch_execz .LBB4_517
; %bb.456:                              ;   in Loop: Header=BB4_77 Depth=1
	s_and_saveexec_b32 s19, s7
	s_cbranch_execz .LBB4_516
; %bb.457:                              ;   in Loop: Header=BB4_77 Depth=1
	s_mov_b32 s21, exec_lo
	s_mov_b32 s20, exec_lo
	v_mbcnt_lo_u32_b32 v11, s21, 0
	global_wb scope:SCOPE_DEV
	s_wait_storecnt 0x0
	s_wait_loadcnt_dscnt 0x0
	global_inv scope:SCOPE_DEV
	v_cmpx_eq_u32_e32 0, v11
	s_cbranch_execz .LBB4_459
; %bb.458:                              ;   in Loop: Header=BB4_77 Depth=1
	s_bcnt1_i32_b32 s21, s21
	s_delay_alu instid0(SALU_CYCLE_1)
	v_mov_b32_e32 v34, s21
	s_wait_loadcnt 0x0
	ds_add_u64 v0, v[34:35]
	s_trap 2
.LBB4_459:                              ;   in Loop: Header=BB4_77 Depth=1
	s_or_b32 exec_lo, exec_lo, s20
	s_trap 2
	ds_load_b64 v[12:13], v0
	s_wait_dscnt 0x0
	v_add_nc_u64_e32 v[26:27], v[26:27], v[36:37]
	s_mov_b32 s20, exec_lo
	s_delay_alu instid0(VALU_DEP_1)
	v_cmpx_lt_u64_e64 v[12:13], v[26:27]
	s_cbranch_execz .LBB4_515
; %bb.460:                              ;   in Loop: Header=BB4_77 Depth=1
	s_mov_b32 s21, 0
	s_mov_b32 s44, 0
                                        ; implicit-def: $sgpr42
                                        ; implicit-def: $sgpr43
	s_branch .LBB4_462
.LBB4_461:                              ;   in Loop: Header=BB4_462 Depth=2
	s_or_b32 exec_lo, exec_lo, s46
	s_delay_alu instid0(SALU_CYCLE_1) | instskip(NEXT) | instid1(SALU_CYCLE_1)
	s_and_b32 s45, exec_lo, s47
	s_or_b32 s21, s45, s21
	s_and_not1_b32 s42, s42, exec_lo
	s_and_b32 s45, s43, exec_lo
	s_delay_alu instid0(SALU_CYCLE_1)
	s_or_b32 s42, s42, s45
	s_and_not1_b32 exec_lo, exec_lo, s21
	s_cbranch_execz .LBB4_513
.LBB4_462:                              ;   Parent Loop BB4_77 Depth=1
                                        ; =>  This Inner Loop Header: Depth=2
	s_add_co_i32 s44, s44, 1
	s_delay_alu instid0(SALU_CYCLE_1) | instskip(SKIP_1) | instid1(SALU_CYCLE_1)
	s_cmp_lg_u32 s44, 0x2710
	s_cselect_b32 s45, -1, 0
	s_and_b32 vcc_lo, exec_lo, s45
	s_cbranch_vccz .LBB4_464
; %bb.463:                              ;   in Loop: Header=BB4_462 Depth=2
	s_mov_b32 s47, -1
	s_or_b32 s43, s43, exec_lo
	s_and_saveexec_b32 s46, s45
	s_cbranch_execz .LBB4_461
	s_branch .LBB4_465
.LBB4_464:                              ;   in Loop: Header=BB4_462 Depth=2
	s_trap 2
	ds_load_b64 v[12:13], v0
	s_and_not1_b32 s45, s45, exec_lo
	s_mov_b32 s44, 0
	s_wait_loadcnt_dscnt 0x0
	flat_load_b32 v11, v[12:13] scope:SCOPE_SYS
	s_wait_loadcnt_dscnt 0x0
	global_inv scope:SCOPE_SYS
	v_cmp_eq_u32_e32 vcc_lo, 0, v11
	s_and_b32 s46, vcc_lo, exec_lo
	s_delay_alu instid0(SALU_CYCLE_1)
	s_or_b32 s45, s45, s46
	s_mov_b32 s47, -1
	s_or_b32 s43, s43, exec_lo
	s_and_saveexec_b32 s46, s45
	s_cbranch_execz .LBB4_461
.LBB4_465:                              ;   in Loop: Header=BB4_462 Depth=2
	s_sleep 1
	s_trap 2
	ds_load_b64 v[12:13], v0
	s_wait_dscnt 0x0
	s_and_not1_b32 s43, s43, exec_lo
	v_cmp_ge_u64_e32 vcc_lo, v[12:13], v[26:27]
	s_or_not1_b32 s47, vcc_lo, exec_lo
	s_branch .LBB4_461
.LBB4_466:                              ;   in Loop: Header=BB4_77 Depth=1
	s_or_b32 exec_lo, exec_lo, s20
	s_and_saveexec_b32 s20, s21
	s_delay_alu instid0(SALU_CYCLE_1)
	s_xor_b32 s20, exec_lo, s20
	s_cbranch_execz .LBB4_468
; %bb.467:                              ;   in Loop: Header=BB4_77 Depth=1
	ds_store_b32 v0, v116
	s_trap 2
.LBB4_468:                              ;   in Loop: Header=BB4_77 Depth=1
	s_or_b32 exec_lo, exec_lo, s19
	;;#ASMSTART
	s_wakeup
	;;#ASMEND
.LBB4_469:                              ;   in Loop: Header=BB4_77 Depth=1
	s_or_b32 exec_lo, exec_lo, s18
.LBB4_470:                              ;   in Loop: Header=BB4_77 Depth=1
	s_and_not1_saveexec_b32 s17, s17
	s_cbranch_execz .LBB4_472
; %bb.471:                              ;   in Loop: Header=BB4_77 Depth=1
	;;#ASMSTART
	s_waitcnt lgkmcnt(0) vmcnt(0)
	;;#ASMEND
	s_barrier_signal -1
	s_barrier_wait -1
.LBB4_472:                              ;   in Loop: Header=BB4_77 Depth=1
	s_or_b32 exec_lo, exec_lo, s17
.LBB4_473:                              ;   in Loop: Header=BB4_77 Depth=1
	s_delay_alu instid0(SALU_CYCLE_1) | instskip(NEXT) | instid1(SALU_CYCLE_1)
	s_or_b32 exec_lo, exec_lo, s16
	s_mov_b32 s16, exec_lo
	v_cmpx_ne_u32_e32 0, v10
	s_cbranch_execz .LBB4_477
; %bb.474:                              ;   in Loop: Header=BB4_77 Depth=1
	s_and_saveexec_b32 s17, s6
	s_cbranch_execz .LBB4_476
; %bb.475:                              ;   in Loop: Header=BB4_77 Depth=1
	global_wb scope:SCOPE_SYS
	s_wait_storecnt 0x0
	s_wait_loadcnt_dscnt 0x0
	flat_store_b32 v[28:29], v116 scope:SCOPE_SYS
.LBB4_476:                              ;   in Loop: Header=BB4_77 Depth=1
	s_wait_xcnt 0x0
	s_or_b32 exec_lo, exec_lo, s17
	v_add_nc_u64_e32 v[8:9], 1, v[8:9]
	global_wb scope:SCOPE_SYS
	s_wait_storecnt 0x0
	s_wait_loadcnt_dscnt 0x0
	flat_store_b64 v[20:21], v[8:9] scope:SCOPE_SYS
.LBB4_477:                              ;   in Loop: Header=BB4_77 Depth=1
	s_wait_xcnt 0x0
	s_or_b32 exec_lo, exec_lo, s16
	v_mov_b32_e32 v12, v84
.LBB4_478:                              ;   in Loop: Header=BB4_77 Depth=1
	s_or_b32 exec_lo, exec_lo, s43
	s_mov_b32 s18, 0
	s_mov_b32 s16, s40
	s_and_saveexec_b32 s17, s14
	s_cbranch_execz .LBB4_618
; %bb.479:                              ;   in Loop: Header=BB4_77 Depth=1
	v_dual_sub_nc_u32 v10, v42, v12 :: v_dual_bitop2_b32 v11, 8, v114 bitop3:0x40
	s_mov_b32 s18, exec_lo
	s_delay_alu instid0(VALU_DEP_1) | instskip(NEXT) | instid1(VALU_DEP_2)
	v_min_i32_e32 v10, v84, v10
	v_cmpx_ne_u32_e32 0, v11
	s_cbranch_execz .LBB4_501
; %bb.480:                              ;   in Loop: Header=BB4_77 Depth=1
	s_wait_loadcnt_dscnt 0x1
	v_add_nc_u64_e32 v[84:85], 8, v[32:33]
	v_add_nc_u64_e32 v[12:13], 1, v[8:9]
	s_mov_b32 s19, exec_lo
	s_delay_alu instid0(VALU_DEP_1)
	v_cmpx_lt_u64_e64 v[84:85], v[12:13]
	s_cbranch_execz .LBB4_492
; %bb.481:                              ;   in Loop: Header=BB4_77 Depth=1
	v_and_b32_e32 v9, 64, v114
	s_mov_b32 s20, 0
	s_mov_b32 s45, 0
                                        ; implicit-def: $sgpr21
                                        ; implicit-def: $sgpr43
                                        ; implicit-def: $sgpr44
	s_delay_alu instid0(VALU_DEP_1)
	v_cmp_eq_u32_e32 vcc_lo, 0, v9
	s_branch .LBB4_485
.LBB4_482:                              ;   in Loop: Header=BB4_485 Depth=2
	s_wait_loadcnt_dscnt 0x0
	v_add_nc_u64_e32 v[84:85], 8, v[32:33]
	s_or_b32 s56, s56, exec_lo
	s_delay_alu instid0(VALU_DEP_1)
	v_cmp_ge_u64_e64 s16, v[84:85], v[12:13]
	s_or_not1_b32 s47, s16, exec_lo
.LBB4_483:                              ;   in Loop: Header=BB4_485 Depth=2
	s_or_b32 exec_lo, exec_lo, s58
	s_delay_alu instid0(SALU_CYCLE_1)
	s_and_not1_b32 s16, s44, exec_lo
	s_and_b32 s44, s56, exec_lo
	s_and_not1_b32 s43, s43, exec_lo
	s_and_b32 s47, s47, exec_lo
	s_or_b32 s44, s16, s44
	s_or_b32 s43, s43, s47
.LBB4_484:                              ;   in Loop: Header=BB4_485 Depth=2
	s_or_b32 exec_lo, exec_lo, s46
	s_delay_alu instid0(SALU_CYCLE_1) | instskip(NEXT) | instid1(SALU_CYCLE_1)
	s_and_b32 s16, exec_lo, s43
	s_or_b32 s20, s16, s20
	s_and_not1_b32 s16, s21, exec_lo
	s_and_b32 s21, s44, exec_lo
	s_delay_alu instid0(SALU_CYCLE_1)
	s_or_b32 s21, s16, s21
	s_and_not1_b32 exec_lo, exec_lo, s20
	s_cbranch_execz .LBB4_489
.LBB4_485:                              ;   Parent Loop BB4_77 Depth=1
                                        ; =>  This Inner Loop Header: Depth=2
	s_sleep 1
	s_wait_loadcnt_dscnt 0x0
	flat_load_b64 v[32:33], v[20:21] scope:SCOPE_SYS
	s_or_b32 s44, s44, exec_lo
	s_or_b32 s43, s43, exec_lo
                                        ; implicit-def: $vgpr9
	s_wait_xcnt 0x0
	s_and_saveexec_b32 s46, vcc_lo
	s_cbranch_execz .LBB4_484
; %bb.486:                              ;   in Loop: Header=BB4_485 Depth=2
	s_cmp_lt_i32 s45, 0x270f
	s_mov_b32 s47, -1
	s_cselect_b32 s57, -1, 0
	s_cmp_gt_i32 s45, 0x270e
	s_cbranch_scc0 .LBB4_488
; %bb.487:                              ;   in Loop: Header=BB4_485 Depth=2
	s_trap 2
	ds_load_b64 v[84:85], v0
	s_and_not1_b32 s45, s57, exec_lo
	s_mov_b32 s56, 0
	s_wait_storecnt 0x0
	s_wait_loadcnt_dscnt 0x0
	flat_load_b32 v9, v[84:85] scope:SCOPE_SYS
	s_wait_loadcnt_dscnt 0x0
	global_inv scope:SCOPE_SYS
	v_cmp_eq_u32_e64 s16, 0, v9
	s_and_b32 s16, s16, exec_lo
	s_delay_alu instid0(SALU_CYCLE_1)
	s_or_b32 s57, s45, s16
	s_mov_b32 s45, 0
	s_and_saveexec_b32 s58, s57
	s_cbranch_execz .LBB4_483
	s_branch .LBB4_482
.LBB4_488:                              ;   in Loop: Header=BB4_485 Depth=2
	s_add_co_i32 s45, s45, 1
	s_mov_b32 s56, -1
                                        ; implicit-def: $vgpr9
	s_and_saveexec_b32 s58, s57
	s_cbranch_execz .LBB4_483
	s_branch .LBB4_482
.LBB4_489:                              ;   in Loop: Header=BB4_77 Depth=1
	s_or_b32 exec_lo, exec_lo, s20
	s_xor_b32 s16, s21, -1
	s_delay_alu instid0(SALU_CYCLE_1) | instskip(NEXT) | instid1(SALU_CYCLE_1)
	s_and_saveexec_b32 s20, s16
	s_xor_b32 s16, exec_lo, s20
	s_cbranch_execz .LBB4_491
; %bb.490:                              ;   in Loop: Header=BB4_77 Depth=1
	v_or_b32_e32 v114, 64, v114
	s_wait_storecnt 0x0
	s_wait_loadcnt_dscnt 0x0
	ds_store_b32 v0, v9
	s_trap 2
.LBB4_491:                              ;   in Loop: Header=BB4_77 Depth=1
	s_or_b32 exec_lo, exec_lo, s16
.LBB4_492:                              ;   in Loop: Header=BB4_77 Depth=1
	s_delay_alu instid0(SALU_CYCLE_1) | instskip(SKIP_4) | instid1(VALU_DEP_2)
	s_or_b32 exec_lo, exec_lo, s19
	v_and_b32_e32 v9, 0x100, v114
	v_and_b32_e32 v34, 7, v8
	s_mov_b32 s16, -1
	;;#ASMSTART
	s_wakeup
	;;#ASMEND
	v_cmp_ne_u32_e32 vcc_lo, 0, v9
                                        ; implicit-def: $vgpr8_vgpr9
	s_and_saveexec_b32 s19, vcc_lo
	s_cbranch_execz .LBB4_496
; %bb.493:                              ;   in Loop: Header=BB4_77 Depth=1
	v_mad_nc_u64_u32 v[84:85], v34, 24, v[6:7]
	v_ashrrev_i32_e32 v11, 31, v10
	s_clause 0x1
	flat_load_b32 v8, v[84:85]
	flat_store_b64 v[84:85], v[10:11] offset:8
	s_wait_loadcnt_dscnt 0x1
	v_cmp_eq_u32_e64 s16, 1, v8
	v_cmp_ne_u32_e32 vcc_lo, 1, v8
                                        ; implicit-def: $vgpr8_vgpr9
	s_wait_xcnt 0x0
	s_and_saveexec_b32 s20, s16
	s_cbranch_execz .LBB4_495
; %bb.494:                              ;   in Loop: Header=BB4_77 Depth=1
	flat_load_b32 v8, v[84:85] offset:4 scope:SCOPE_SYS
	s_wait_loadcnt_dscnt 0x0
	v_ashrrev_i32_e32 v9, 31, v8
.LBB4_495:                              ;   in Loop: Header=BB4_77 Depth=1
	s_wait_xcnt 0x0
	s_or_b32 exec_lo, exec_lo, s20
	s_delay_alu instid0(SALU_CYCLE_1)
	s_or_not1_b32 s16, vcc_lo, exec_lo
.LBB4_496:                              ;   in Loop: Header=BB4_77 Depth=1
	s_or_b32 exec_lo, exec_lo, s19
	s_and_saveexec_b32 s19, s16
; %bb.497:                              ;   in Loop: Header=BB4_77 Depth=1
	v_mul_u64_e32 v[8:9], v[34:35], v[22:23]
; %bb.498:                              ;   in Loop: Header=BB4_77 Depth=1
	s_or_b32 exec_lo, exec_lo, s19
	s_delay_alu instid0(VALU_DEP_1)
	v_add_nc_u64_e32 v[8:9], v[24:25], v[8:9]
	v_and_b32_e32 v11, 0x2000, v114
	s_mov_b32 s16, exec_lo
	ds_store_b64 v0, v[8:9] offset:792
	v_cmpx_ne_u32_e32 0, v11
	s_cbranch_execz .LBB4_500
; %bb.499:                              ;   in Loop: Header=BB4_77 Depth=1
	ds_load_b64 v[8:9], v0 offset:872
	s_wait_dscnt 0x0
	v_add_nc_u64_e32 v[8:9], 1, v[8:9]
	ds_store_b64 v0, v[8:9] offset:872
.LBB4_500:                              ;   in Loop: Header=BB4_77 Depth=1
	s_or_b32 exec_lo, exec_lo, s16
	v_mov_b64_e32 v[8:9], v[12:13]
.LBB4_501:                              ;   in Loop: Header=BB4_77 Depth=1
	s_or_b32 exec_lo, exec_lo, s18
	s_and_saveexec_b32 s16, s3
	s_cbranch_execz .LBB4_543
; %bb.502:                              ;   in Loop: Header=BB4_77 Depth=1
	s_and_saveexec_b32 s18, s4
	s_delay_alu instid0(SALU_CYCLE_1)
	s_xor_b32 s18, exec_lo, s18
	s_cbranch_execz .LBB4_540
; %bb.503:                              ;   in Loop: Header=BB4_77 Depth=1
	s_and_saveexec_b32 s19, s7
	s_cbranch_execz .LBB4_539
; %bb.504:                              ;   in Loop: Header=BB4_77 Depth=1
	s_mov_b32 s21, exec_lo
	s_mov_b32 s20, exec_lo
	v_mbcnt_lo_u32_b32 v11, s21, 0
	global_wb scope:SCOPE_DEV
	s_wait_storecnt 0x0
	s_wait_loadcnt_dscnt 0x0
	global_inv scope:SCOPE_DEV
	v_cmpx_eq_u32_e32 0, v11
	s_cbranch_execz .LBB4_506
; %bb.505:                              ;   in Loop: Header=BB4_77 Depth=1
	s_bcnt1_i32_b32 s21, s21
	s_delay_alu instid0(SALU_CYCLE_1)
	v_mov_b32_e32 v34, s21
	s_wait_loadcnt 0x0
	ds_add_u64 v0, v[34:35]
	s_trap 2
.LBB4_506:                              ;   in Loop: Header=BB4_77 Depth=1
	s_or_b32 exec_lo, exec_lo, s20
	s_trap 2
	ds_load_b64 v[12:13], v0
	s_wait_dscnt 0x0
	v_add_nc_u64_e32 v[26:27], v[26:27], v[36:37]
	s_mov_b32 s20, exec_lo
	s_delay_alu instid0(VALU_DEP_1)
	v_cmpx_lt_u64_e64 v[12:13], v[26:27]
	s_cbranch_execz .LBB4_538
; %bb.507:                              ;   in Loop: Header=BB4_77 Depth=1
	s_mov_b32 s21, 0
	s_mov_b32 s45, 0
                                        ; implicit-def: $sgpr43
                                        ; implicit-def: $sgpr44
	s_branch .LBB4_509
.LBB4_508:                              ;   in Loop: Header=BB4_509 Depth=2
	s_or_b32 exec_lo, exec_lo, s47
	s_delay_alu instid0(SALU_CYCLE_1) | instskip(NEXT) | instid1(SALU_CYCLE_1)
	s_and_b32 s46, exec_lo, s56
	s_or_b32 s21, s46, s21
	s_and_not1_b32 s43, s43, exec_lo
	s_and_b32 s46, s44, exec_lo
	s_delay_alu instid0(SALU_CYCLE_1)
	s_or_b32 s43, s43, s46
	s_and_not1_b32 exec_lo, exec_lo, s21
	s_cbranch_execz .LBB4_536
.LBB4_509:                              ;   Parent Loop BB4_77 Depth=1
                                        ; =>  This Inner Loop Header: Depth=2
	s_add_co_i32 s45, s45, 1
	s_delay_alu instid0(SALU_CYCLE_1) | instskip(SKIP_1) | instid1(SALU_CYCLE_1)
	s_cmp_lg_u32 s45, 0x2710
	s_cselect_b32 s46, -1, 0
	s_and_b32 vcc_lo, exec_lo, s46
	s_cbranch_vccz .LBB4_511
; %bb.510:                              ;   in Loop: Header=BB4_509 Depth=2
	s_mov_b32 s56, -1
	s_or_b32 s44, s44, exec_lo
	s_and_saveexec_b32 s47, s46
	s_cbranch_execz .LBB4_508
	s_branch .LBB4_512
.LBB4_511:                              ;   in Loop: Header=BB4_509 Depth=2
	s_trap 2
	ds_load_b64 v[12:13], v0
	s_and_not1_b32 s46, s46, exec_lo
	s_mov_b32 s45, 0
	s_wait_loadcnt_dscnt 0x0
	flat_load_b32 v11, v[12:13] scope:SCOPE_SYS
	s_wait_loadcnt_dscnt 0x0
	global_inv scope:SCOPE_SYS
	v_cmp_eq_u32_e32 vcc_lo, 0, v11
	s_and_b32 s47, vcc_lo, exec_lo
	s_delay_alu instid0(SALU_CYCLE_1)
	s_or_b32 s46, s46, s47
	s_mov_b32 s56, -1
	s_or_b32 s44, s44, exec_lo
	s_and_saveexec_b32 s47, s46
	s_cbranch_execz .LBB4_508
.LBB4_512:                              ;   in Loop: Header=BB4_509 Depth=2
	s_sleep 1
	s_trap 2
	ds_load_b64 v[12:13], v0
	s_wait_dscnt 0x0
	s_and_not1_b32 s44, s44, exec_lo
	v_cmp_ge_u64_e32 vcc_lo, v[12:13], v[26:27]
	s_or_not1_b32 s56, vcc_lo, exec_lo
	s_branch .LBB4_508
.LBB4_513:                              ;   in Loop: Header=BB4_77 Depth=1
	s_or_b32 exec_lo, exec_lo, s21
	s_and_saveexec_b32 s21, s42
	s_delay_alu instid0(SALU_CYCLE_1)
	s_xor_b32 s21, exec_lo, s21
	s_cbranch_execz .LBB4_515
; %bb.514:                              ;   in Loop: Header=BB4_77 Depth=1
	ds_store_b32 v0, v116
	s_trap 2
.LBB4_515:                              ;   in Loop: Header=BB4_77 Depth=1
	s_or_b32 exec_lo, exec_lo, s20
	;;#ASMSTART
	s_wakeup
	;;#ASMEND
.LBB4_516:                              ;   in Loop: Header=BB4_77 Depth=1
	s_or_b32 exec_lo, exec_lo, s19
.LBB4_517:                              ;   in Loop: Header=BB4_77 Depth=1
	s_and_not1_saveexec_b32 s18, s18
	s_cbranch_execz .LBB4_519
; %bb.518:                              ;   in Loop: Header=BB4_77 Depth=1
	global_wb scope:SCOPE_DEV
	s_wait_storecnt 0x0
	s_wait_loadcnt_dscnt 0x0
	global_inv scope:SCOPE_DEV
	s_barrier_signal -1
	s_barrier_wait -1
.LBB4_519:                              ;   in Loop: Header=BB4_77 Depth=1
	s_or_b32 exec_lo, exec_lo, s18
.LBB4_520:                              ;   in Loop: Header=BB4_77 Depth=1
	s_delay_alu instid0(SALU_CYCLE_1) | instskip(SKIP_2) | instid1(SALU_CYCLE_1)
	s_or_b32 exec_lo, exec_lo, s16
	v_and_b32_e32 v11, 16, v114
	s_and_saveexec_b32 s16, s11
	s_xor_b32 s18, exec_lo, s16
	s_cbranch_execz .LBB4_524
; %bb.521:                              ;   in Loop: Header=BB4_77 Depth=1
	s_trap 2
	ds_load_b32 v11, v0
	v_cmp_lt_i32_e32 vcc_lo, 0, v10
	s_wait_dscnt 0x0
	v_readfirstlane_b32 s16, v11
	v_and_b32_e32 v11, 16, v114
	s_cmp_eq_u32 s16, 0
	s_delay_alu instid0(VALU_DEP_1) | instskip(SKIP_3) | instid1(SALU_CYCLE_1)
	v_cmp_ne_u32_e64 s16, 0, v11
	s_cselect_b32 s19, -1, 0
	v_and_b32_e32 v11, 16, v114
	s_and_b32 s19, vcc_lo, s19
	s_and_b32 s19, s16, s19
	s_delay_alu instid0(SALU_CYCLE_1)
	s_and_saveexec_b32 s16, s19
	s_cbranch_execz .LBB4_523
; %bb.522:                              ;   in Loop: Header=BB4_77 Depth=1
	v_mov_b32_e32 v11, 1
	global_wb scope:SCOPE_SYS
	s_wait_loadcnt 0x0
	s_wait_storecnt 0x0
	global_inv scope:SCOPE_SYS
.LBB4_523:                              ;   in Loop: Header=BB4_77 Depth=1
	s_or_b32 exec_lo, exec_lo, s16
.LBB4_524:                              ;   in Loop: Header=BB4_77 Depth=1
	s_and_not1_saveexec_b32 s16, s18
	s_cbranch_execz .LBB4_566
; %bb.525:                              ;   in Loop: Header=BB4_77 Depth=1
	s_and_saveexec_b32 s18, s4
	s_delay_alu instid0(SALU_CYCLE_1)
	s_xor_b32 s18, exec_lo, s18
	s_cbranch_execz .LBB4_563
; %bb.526:                              ;   in Loop: Header=BB4_77 Depth=1
	s_and_saveexec_b32 s19, s7
	s_cbranch_execz .LBB4_562
; %bb.527:                              ;   in Loop: Header=BB4_77 Depth=1
	s_mov_b32 s21, exec_lo
	s_mov_b32 s20, exec_lo
	v_mbcnt_lo_u32_b32 v10, s21, 0
	;;#ASMSTART
	s_waitcnt lgkmcnt(0) vmcnt(0)
	;;#ASMEND
	s_delay_alu instid0(VALU_DEP_1)
	v_cmpx_eq_u32_e32 0, v10
	s_cbranch_execz .LBB4_529
; %bb.528:                              ;   in Loop: Header=BB4_77 Depth=1
	s_bcnt1_i32_b32 s21, s21
	s_delay_alu instid0(SALU_CYCLE_1)
	v_mov_b32_e32 v34, s21
	s_wait_storecnt 0x0
	s_wait_loadcnt_dscnt 0x0
	ds_add_u64 v0, v[34:35]
	s_trap 2
.LBB4_529:                              ;   in Loop: Header=BB4_77 Depth=1
	s_or_b32 exec_lo, exec_lo, s20
	s_trap 2
	ds_load_b64 v[12:13], v0
	s_wait_dscnt 0x0
	v_add_nc_u64_e32 v[26:27], v[26:27], v[36:37]
	s_mov_b32 s20, exec_lo
	s_delay_alu instid0(VALU_DEP_1)
	v_cmpx_lt_u64_e64 v[12:13], v[26:27]
	s_cbranch_execz .LBB4_561
; %bb.530:                              ;   in Loop: Header=BB4_77 Depth=1
	s_mov_b32 s21, 0
	s_mov_b32 s44, 0
                                        ; implicit-def: $sgpr42
                                        ; implicit-def: $sgpr43
	s_branch .LBB4_532
.LBB4_531:                              ;   in Loop: Header=BB4_532 Depth=2
	s_or_b32 exec_lo, exec_lo, s46
	s_delay_alu instid0(SALU_CYCLE_1) | instskip(NEXT) | instid1(SALU_CYCLE_1)
	s_and_b32 s45, exec_lo, s47
	s_or_b32 s21, s45, s21
	s_and_not1_b32 s42, s42, exec_lo
	s_and_b32 s45, s43, exec_lo
	s_delay_alu instid0(SALU_CYCLE_1)
	s_or_b32 s42, s42, s45
	s_and_not1_b32 exec_lo, exec_lo, s21
	s_cbranch_execz .LBB4_559
.LBB4_532:                              ;   Parent Loop BB4_77 Depth=1
                                        ; =>  This Inner Loop Header: Depth=2
	s_add_co_i32 s44, s44, 1
	s_delay_alu instid0(SALU_CYCLE_1) | instskip(SKIP_1) | instid1(SALU_CYCLE_1)
	s_cmp_lg_u32 s44, 0x2710
	s_cselect_b32 s45, -1, 0
	s_and_b32 vcc_lo, exec_lo, s45
	s_cbranch_vccz .LBB4_534
; %bb.533:                              ;   in Loop: Header=BB4_532 Depth=2
	s_mov_b32 s47, -1
	s_or_b32 s43, s43, exec_lo
	s_and_saveexec_b32 s46, s45
	s_cbranch_execz .LBB4_531
	s_branch .LBB4_535
.LBB4_534:                              ;   in Loop: Header=BB4_532 Depth=2
	s_trap 2
	ds_load_b64 v[12:13], v0
	s_and_not1_b32 s45, s45, exec_lo
	s_mov_b32 s44, 0
	s_wait_storecnt 0x0
	s_wait_loadcnt_dscnt 0x0
	flat_load_b32 v10, v[12:13] scope:SCOPE_SYS
	s_wait_loadcnt_dscnt 0x0
	global_inv scope:SCOPE_SYS
	v_cmp_eq_u32_e32 vcc_lo, 0, v10
	s_and_b32 s46, vcc_lo, exec_lo
	s_delay_alu instid0(SALU_CYCLE_1)
	s_or_b32 s45, s45, s46
	s_mov_b32 s47, -1
	s_or_b32 s43, s43, exec_lo
	s_and_saveexec_b32 s46, s45
	s_cbranch_execz .LBB4_531
.LBB4_535:                              ;   in Loop: Header=BB4_532 Depth=2
	s_sleep 1
	s_trap 2
	ds_load_b64 v[12:13], v0
	s_wait_dscnt 0x0
	s_and_not1_b32 s43, s43, exec_lo
	v_cmp_ge_u64_e32 vcc_lo, v[12:13], v[26:27]
	s_or_not1_b32 s47, vcc_lo, exec_lo
	s_branch .LBB4_531
.LBB4_536:                              ;   in Loop: Header=BB4_77 Depth=1
	s_or_b32 exec_lo, exec_lo, s21
	s_and_saveexec_b32 s21, s43
	s_delay_alu instid0(SALU_CYCLE_1)
	s_xor_b32 s21, exec_lo, s21
	s_cbranch_execz .LBB4_538
; %bb.537:                              ;   in Loop: Header=BB4_77 Depth=1
	ds_store_b32 v0, v116
	s_trap 2
.LBB4_538:                              ;   in Loop: Header=BB4_77 Depth=1
	s_or_b32 exec_lo, exec_lo, s20
	;;#ASMSTART
	s_wakeup
	;;#ASMEND
.LBB4_539:                              ;   in Loop: Header=BB4_77 Depth=1
	s_or_b32 exec_lo, exec_lo, s19
.LBB4_540:                              ;   in Loop: Header=BB4_77 Depth=1
	s_and_not1_saveexec_b32 s18, s18
	s_cbranch_execz .LBB4_542
; %bb.541:                              ;   in Loop: Header=BB4_77 Depth=1
	global_wb scope:SCOPE_DEV
	s_wait_storecnt 0x0
	s_wait_loadcnt_dscnt 0x0
	global_inv scope:SCOPE_DEV
	s_barrier_signal -1
	s_barrier_wait -1
.LBB4_542:                              ;   in Loop: Header=BB4_77 Depth=1
	s_or_b32 exec_lo, exec_lo, s18
.LBB4_543:                              ;   in Loop: Header=BB4_77 Depth=1
	s_delay_alu instid0(SALU_CYCLE_1) | instskip(SKIP_2) | instid1(SALU_CYCLE_1)
	s_or_b32 exec_lo, exec_lo, s16
	v_and_b32_e32 v11, 16, v114
	s_and_saveexec_b32 s16, s11
	s_xor_b32 s18, exec_lo, s16
	s_cbranch_execz .LBB4_547
; %bb.544:                              ;   in Loop: Header=BB4_77 Depth=1
	s_trap 2
	ds_load_b32 v11, v0
	v_cmp_lt_i32_e32 vcc_lo, 0, v10
	s_wait_dscnt 0x0
	v_readfirstlane_b32 s16, v11
	v_and_b32_e32 v11, 16, v114
	s_cmp_eq_u32 s16, 0
	s_delay_alu instid0(VALU_DEP_1) | instskip(SKIP_3) | instid1(SALU_CYCLE_1)
	v_cmp_ne_u32_e64 s16, 0, v11
	s_cselect_b32 s19, -1, 0
	v_and_b32_e32 v11, 16, v114
	s_and_b32 s19, vcc_lo, s19
	s_and_b32 s19, s16, s19
	s_delay_alu instid0(SALU_CYCLE_1)
	s_and_saveexec_b32 s16, s19
	s_cbranch_execz .LBB4_546
; %bb.545:                              ;   in Loop: Header=BB4_77 Depth=1
	v_mov_b32_e32 v11, 1
	global_wb scope:SCOPE_SYS
	s_wait_loadcnt 0x0
	s_wait_storecnt 0x0
	global_inv scope:SCOPE_SYS
.LBB4_546:                              ;   in Loop: Header=BB4_77 Depth=1
	s_or_b32 exec_lo, exec_lo, s16
.LBB4_547:                              ;   in Loop: Header=BB4_77 Depth=1
	s_and_not1_saveexec_b32 s16, s18
	s_cbranch_execz .LBB4_615
; %bb.548:                              ;   in Loop: Header=BB4_77 Depth=1
	s_and_saveexec_b32 s18, s4
	s_delay_alu instid0(SALU_CYCLE_1)
	s_xor_b32 s18, exec_lo, s18
	s_cbranch_execz .LBB4_612
; %bb.549:                              ;   in Loop: Header=BB4_77 Depth=1
	s_and_saveexec_b32 s19, s7
	s_cbranch_execz .LBB4_611
; %bb.550:                              ;   in Loop: Header=BB4_77 Depth=1
	s_mov_b32 s21, exec_lo
	s_mov_b32 s20, exec_lo
	v_mbcnt_lo_u32_b32 v10, s21, 0
	;;#ASMSTART
	s_waitcnt lgkmcnt(0) vmcnt(0)
	;;#ASMEND
	s_delay_alu instid0(VALU_DEP_1)
	v_cmpx_eq_u32_e32 0, v10
	s_cbranch_execz .LBB4_552
; %bb.551:                              ;   in Loop: Header=BB4_77 Depth=1
	s_bcnt1_i32_b32 s21, s21
	s_delay_alu instid0(SALU_CYCLE_1)
	v_mov_b32_e32 v34, s21
	s_wait_storecnt 0x0
	s_wait_loadcnt_dscnt 0x0
	ds_add_u64 v0, v[34:35]
	s_trap 2
.LBB4_552:                              ;   in Loop: Header=BB4_77 Depth=1
	s_or_b32 exec_lo, exec_lo, s20
	s_trap 2
	ds_load_b64 v[12:13], v0
	s_wait_dscnt 0x0
	v_add_nc_u64_e32 v[26:27], v[26:27], v[36:37]
	s_mov_b32 s20, exec_lo
	s_delay_alu instid0(VALU_DEP_1)
	v_cmpx_lt_u64_e64 v[12:13], v[26:27]
	s_cbranch_execz .LBB4_610
; %bb.553:                              ;   in Loop: Header=BB4_77 Depth=1
	s_mov_b32 s21, 0
	s_mov_b32 s45, 0
                                        ; implicit-def: $sgpr43
                                        ; implicit-def: $sgpr44
	s_branch .LBB4_555
.LBB4_554:                              ;   in Loop: Header=BB4_555 Depth=2
	s_or_b32 exec_lo, exec_lo, s47
	s_delay_alu instid0(SALU_CYCLE_1) | instskip(NEXT) | instid1(SALU_CYCLE_1)
	s_and_b32 s46, exec_lo, s56
	s_or_b32 s21, s46, s21
	s_and_not1_b32 s43, s43, exec_lo
	s_and_b32 s46, s44, exec_lo
	s_delay_alu instid0(SALU_CYCLE_1)
	s_or_b32 s43, s43, s46
	s_and_not1_b32 exec_lo, exec_lo, s21
	s_cbranch_execz .LBB4_608
.LBB4_555:                              ;   Parent Loop BB4_77 Depth=1
                                        ; =>  This Inner Loop Header: Depth=2
	s_add_co_i32 s45, s45, 1
	s_delay_alu instid0(SALU_CYCLE_1) | instskip(SKIP_1) | instid1(SALU_CYCLE_1)
	s_cmp_lg_u32 s45, 0x2710
	s_cselect_b32 s46, -1, 0
	s_and_b32 vcc_lo, exec_lo, s46
	s_cbranch_vccz .LBB4_557
; %bb.556:                              ;   in Loop: Header=BB4_555 Depth=2
	s_mov_b32 s56, -1
	s_or_b32 s44, s44, exec_lo
	s_and_saveexec_b32 s47, s46
	s_cbranch_execz .LBB4_554
	s_branch .LBB4_558
.LBB4_557:                              ;   in Loop: Header=BB4_555 Depth=2
	s_trap 2
	ds_load_b64 v[12:13], v0
	s_and_not1_b32 s46, s46, exec_lo
	s_mov_b32 s45, 0
	s_wait_storecnt 0x0
	s_wait_loadcnt_dscnt 0x0
	flat_load_b32 v10, v[12:13] scope:SCOPE_SYS
	s_wait_loadcnt_dscnt 0x0
	global_inv scope:SCOPE_SYS
	v_cmp_eq_u32_e32 vcc_lo, 0, v10
	s_and_b32 s47, vcc_lo, exec_lo
	s_delay_alu instid0(SALU_CYCLE_1)
	s_or_b32 s46, s46, s47
	s_mov_b32 s56, -1
	s_or_b32 s44, s44, exec_lo
	s_and_saveexec_b32 s47, s46
	s_cbranch_execz .LBB4_554
.LBB4_558:                              ;   in Loop: Header=BB4_555 Depth=2
	s_sleep 1
	s_trap 2
	ds_load_b64 v[12:13], v0
	s_wait_dscnt 0x0
	s_and_not1_b32 s44, s44, exec_lo
	v_cmp_ge_u64_e32 vcc_lo, v[12:13], v[26:27]
	s_or_not1_b32 s56, vcc_lo, exec_lo
	s_branch .LBB4_554
.LBB4_559:                              ;   in Loop: Header=BB4_77 Depth=1
	s_or_b32 exec_lo, exec_lo, s21
	s_and_saveexec_b32 s21, s42
	s_delay_alu instid0(SALU_CYCLE_1)
	s_xor_b32 s21, exec_lo, s21
	s_cbranch_execz .LBB4_561
; %bb.560:                              ;   in Loop: Header=BB4_77 Depth=1
	ds_store_b32 v0, v116
	s_trap 2
.LBB4_561:                              ;   in Loop: Header=BB4_77 Depth=1
	s_or_b32 exec_lo, exec_lo, s20
	;;#ASMSTART
	s_wakeup
	;;#ASMEND
.LBB4_562:                              ;   in Loop: Header=BB4_77 Depth=1
	s_or_b32 exec_lo, exec_lo, s19
.LBB4_563:                              ;   in Loop: Header=BB4_77 Depth=1
	s_and_not1_saveexec_b32 s18, s18
	s_cbranch_execz .LBB4_565
; %bb.564:                              ;   in Loop: Header=BB4_77 Depth=1
	;;#ASMSTART
	s_waitcnt lgkmcnt(0) vmcnt(0)
	;;#ASMEND
	s_barrier_signal -1
	s_barrier_wait -1
.LBB4_565:                              ;   in Loop: Header=BB4_77 Depth=1
	s_or_b32 exec_lo, exec_lo, s18
.LBB4_566:                              ;   in Loop: Header=BB4_77 Depth=1
	s_delay_alu instid0(SALU_CYCLE_1) | instskip(SKIP_2) | instid1(SALU_CYCLE_1)
	s_or_b32 exec_lo, exec_lo, s16
	v_cmp_ne_u32_e32 vcc_lo, 0, v11
	s_xor_b32 s16, s5, -1
	s_and_b32 s18, vcc_lo, s16
	s_delay_alu instid0(SALU_CYCLE_1)
	s_and_saveexec_b32 s16, s18
	s_cbranch_execz .LBB4_568
; %bb.567:                              ;   in Loop: Header=BB4_77 Depth=1
	global_wb scope:SCOPE_SYS
	s_wait_storecnt 0x0
	s_wait_loadcnt_dscnt 0x0
	flat_store_b32 v[28:29], v116 scope:SCOPE_SYS
.LBB4_568:                              ;   in Loop: Header=BB4_77 Depth=1
	s_wait_xcnt 0x0
	s_or_b32 exec_lo, exec_lo, s16
	v_and_b32_e32 v10, 48, v114
	s_delay_alu instid0(VALU_DEP_1)
	v_cmp_ne_u32_e32 vcc_lo, 0, v10
	s_and_b32 s16, vcc_lo, exec_lo
.LBB4_569:                              ;   in Loop: Header=BB4_77 Depth=1
	s_or_b32 exec_lo, exec_lo, s17
	s_delay_alu instid0(SALU_CYCLE_1)
	s_and_b32 s17, s16, exec_lo
                                        ; implicit-def: $vgpr84
                                        ; implicit-def: $vgpr42
                                        ; implicit-def: $vgpr10_vgpr11
.LBB4_570:                              ;   in Loop: Header=BB4_77 Depth=1
	s_and_not1_saveexec_b32 s18, s40
	s_cbranch_execz .LBB4_1000
; %bb.571:                              ;   in Loop: Header=BB4_77 Depth=1
	v_mov_b32_e32 v85, 0
	s_and_saveexec_b32 s19, s15
	s_cbranch_execz .LBB4_849
; %bb.572:                              ;   in Loop: Header=BB4_77 Depth=1
	s_and_saveexec_b32 s16, s0
	s_cbranch_execz .LBB4_574
; %bb.573:                              ;   in Loop: Header=BB4_77 Depth=1
	s_trap 2
	ds_load_b128 v[96:99], v0
	s_wait_dscnt 0x0
	v_add_nc_u64_e32 v[12:13], v[98:99], v[10:11]
	v_cmp_ne_u64_e32 vcc_lo, 0, v[98:99]
	v_add_nc_u64_e32 v[10:11], v[96:97], v[10:11]
	s_delay_alu instid0(VALU_DEP_3)
	v_dual_cndmask_b32 v13, 0, v13 :: v_dual_cndmask_b32 v12, 0, v12
	ds_store_b64 v0, v[10:11]
	ds_store_b64 v0, v[12:13]
.LBB4_574:                              ;   in Loop: Header=BB4_77 Depth=1
	s_or_b32 exec_lo, exec_lo, s16
	v_and_b32_e32 v10, 4, v114
	s_mov_b32 s20, exec_lo
	s_delay_alu instid0(VALU_DEP_1)
	v_cmpx_ne_u32_e32 0, v10
	s_cbranch_execz .LBB4_596
; %bb.575:                              ;   in Loop: Header=BB4_77 Depth=1
	v_add_nc_u64_e32 v[10:11], 1, v[8:9]
	s_mov_b32 s21, exec_lo
	s_wait_loadcnt_dscnt 0x1
	s_delay_alu instid0(VALU_DEP_1)
	v_cmpx_lt_u64_e64 v[32:33], v[10:11]
	s_cbranch_execz .LBB4_587
; %bb.576:                              ;   in Loop: Header=BB4_77 Depth=1
	v_and_b32_e32 v9, 64, v114
	s_mov_b32 s40, 0
	s_mov_b32 s45, 0
                                        ; implicit-def: $sgpr42
                                        ; implicit-def: $sgpr43
                                        ; implicit-def: $sgpr44
	s_delay_alu instid0(VALU_DEP_1)
	v_cmp_eq_u32_e32 vcc_lo, 0, v9
	s_branch .LBB4_580
.LBB4_577:                              ;   in Loop: Header=BB4_580 Depth=2
	s_wait_loadcnt_dscnt 0x0
	v_cmp_ge_u64_e64 s16, v[32:33], v[10:11]
	s_or_b32 s56, s56, exec_lo
	s_or_not1_b32 s47, s16, exec_lo
.LBB4_578:                              ;   in Loop: Header=BB4_580 Depth=2
	s_or_b32 exec_lo, exec_lo, s58
	s_delay_alu instid0(SALU_CYCLE_1)
	s_and_not1_b32 s16, s44, exec_lo
	s_and_b32 s44, s56, exec_lo
	s_and_not1_b32 s43, s43, exec_lo
	s_and_b32 s47, s47, exec_lo
	s_or_b32 s44, s16, s44
	s_or_b32 s43, s43, s47
.LBB4_579:                              ;   in Loop: Header=BB4_580 Depth=2
	s_or_b32 exec_lo, exec_lo, s46
	s_delay_alu instid0(SALU_CYCLE_1) | instskip(NEXT) | instid1(SALU_CYCLE_1)
	s_and_b32 s16, exec_lo, s43
	s_or_b32 s40, s16, s40
	s_and_not1_b32 s16, s42, exec_lo
	s_and_b32 s42, s44, exec_lo
	s_delay_alu instid0(SALU_CYCLE_1)
	s_or_b32 s42, s16, s42
	s_and_not1_b32 exec_lo, exec_lo, s40
	s_cbranch_execz .LBB4_584
.LBB4_580:                              ;   Parent Loop BB4_77 Depth=1
                                        ; =>  This Inner Loop Header: Depth=2
	s_sleep 1
	s_wait_loadcnt_dscnt 0x0
	flat_load_b64 v[32:33], v[20:21] scope:SCOPE_SYS
	s_or_b32 s44, s44, exec_lo
	s_or_b32 s43, s43, exec_lo
                                        ; implicit-def: $vgpr9
	s_wait_xcnt 0x0
	s_and_saveexec_b32 s46, vcc_lo
	s_cbranch_execz .LBB4_579
; %bb.581:                              ;   in Loop: Header=BB4_580 Depth=2
	s_cmp_lt_i32 s45, 0x270f
	s_mov_b32 s47, -1
	s_cselect_b32 s57, -1, 0
	s_cmp_gt_i32 s45, 0x270e
	s_cbranch_scc0 .LBB4_583
; %bb.582:                              ;   in Loop: Header=BB4_580 Depth=2
	s_trap 2
	ds_load_b64 v[12:13], v0
	s_and_not1_b32 s45, s57, exec_lo
	s_mov_b32 s56, 0
	s_wait_storecnt 0x0
	s_wait_loadcnt_dscnt 0x0
	flat_load_b32 v9, v[12:13] scope:SCOPE_SYS
	s_wait_loadcnt_dscnt 0x0
	global_inv scope:SCOPE_SYS
	v_cmp_eq_u32_e64 s16, 0, v9
	s_and_b32 s16, s16, exec_lo
	s_delay_alu instid0(SALU_CYCLE_1)
	s_or_b32 s57, s45, s16
	s_mov_b32 s45, 0
	s_and_saveexec_b32 s58, s57
	s_cbranch_execz .LBB4_578
	s_branch .LBB4_577
.LBB4_583:                              ;   in Loop: Header=BB4_580 Depth=2
	s_add_co_i32 s45, s45, 1
	s_mov_b32 s56, -1
                                        ; implicit-def: $vgpr9
	s_and_saveexec_b32 s58, s57
	s_cbranch_execz .LBB4_578
	s_branch .LBB4_577
.LBB4_584:                              ;   in Loop: Header=BB4_77 Depth=1
	s_or_b32 exec_lo, exec_lo, s40
	s_xor_b32 s16, s42, -1
	s_delay_alu instid0(SALU_CYCLE_1) | instskip(NEXT) | instid1(SALU_CYCLE_1)
	s_and_saveexec_b32 s40, s16
	s_xor_b32 s16, exec_lo, s40
	s_cbranch_execz .LBB4_586
; %bb.585:                              ;   in Loop: Header=BB4_77 Depth=1
	v_or_b32_e32 v114, 64, v114
	s_wait_storecnt 0x0
	s_wait_loadcnt_dscnt 0x0
	ds_store_b32 v0, v9
	s_trap 2
.LBB4_586:                              ;   in Loop: Header=BB4_77 Depth=1
	s_or_b32 exec_lo, exec_lo, s16
.LBB4_587:                              ;   in Loop: Header=BB4_77 Depth=1
	s_delay_alu instid0(SALU_CYCLE_1) | instskip(SKIP_4) | instid1(VALU_DEP_2)
	s_or_b32 exec_lo, exec_lo, s21
	v_and_b32_e32 v9, 0x100, v114
	v_and_b32_e32 v34, 7, v8
	s_mov_b32 s16, -1
	;;#ASMSTART
	s_wakeup
	;;#ASMEND
	v_cmp_ne_u32_e32 vcc_lo, 0, v9
                                        ; implicit-def: $vgpr8_vgpr9
	s_and_saveexec_b32 s21, vcc_lo
	s_cbranch_execz .LBB4_591
; %bb.588:                              ;   in Loop: Header=BB4_77 Depth=1
	v_mad_nc_u64_u32 v[12:13], v34, 24, v[6:7]
	flat_load_b32 v8, v[12:13]
	s_wait_loadcnt_dscnt 0x0
	v_cmp_eq_u32_e64 s16, 1, v8
	v_cmp_ne_u32_e32 vcc_lo, 1, v8
                                        ; implicit-def: $vgpr8_vgpr9
	s_wait_xcnt 0x0
	s_and_saveexec_b32 s40, s16
	s_cbranch_execz .LBB4_590
; %bb.589:                              ;   in Loop: Header=BB4_77 Depth=1
	flat_load_b32 v8, v[12:13] offset:4 scope:SCOPE_SYS
	s_wait_loadcnt_dscnt 0x0
	v_ashrrev_i32_e32 v9, 31, v8
.LBB4_590:                              ;   in Loop: Header=BB4_77 Depth=1
	s_wait_xcnt 0x0
	s_or_b32 exec_lo, exec_lo, s40
	s_delay_alu instid0(SALU_CYCLE_1)
	s_or_not1_b32 s16, vcc_lo, exec_lo
.LBB4_591:                              ;   in Loop: Header=BB4_77 Depth=1
	s_or_b32 exec_lo, exec_lo, s21
	s_and_saveexec_b32 s21, s16
; %bb.592:                              ;   in Loop: Header=BB4_77 Depth=1
	v_mul_u64_e32 v[8:9], v[34:35], v[22:23]
; %bb.593:                              ;   in Loop: Header=BB4_77 Depth=1
	s_or_b32 exec_lo, exec_lo, s21
	s_delay_alu instid0(VALU_DEP_1)
	v_add_nc_u64_e32 v[8:9], v[24:25], v[8:9]
	v_and_b32_e32 v12, 0x2000, v114
	s_mov_b32 s16, exec_lo
	ds_store_b64 v0, v[8:9] offset:720
	v_cmpx_ne_u32_e32 0, v12
	s_cbranch_execz .LBB4_595
; %bb.594:                              ;   in Loop: Header=BB4_77 Depth=1
	ds_load_b64 v[8:9], v0 offset:872
	s_wait_dscnt 0x0
	v_add_nc_u64_e32 v[8:9], 1, v[8:9]
	ds_store_b64 v0, v[8:9] offset:872
.LBB4_595:                              ;   in Loop: Header=BB4_77 Depth=1
	s_or_b32 exec_lo, exec_lo, s16
	v_mov_b64_e32 v[8:9], v[10:11]
.LBB4_596:                              ;   in Loop: Header=BB4_77 Depth=1
	s_or_b32 exec_lo, exec_lo, s20
	s_and_saveexec_b32 s16, s3
	s_cbranch_execz .LBB4_664
; %bb.597:                              ;   in Loop: Header=BB4_77 Depth=1
	s_and_saveexec_b32 s20, s4
	s_delay_alu instid0(SALU_CYCLE_1)
	s_xor_b32 s20, exec_lo, s20
	s_cbranch_execz .LBB4_661
; %bb.598:                              ;   in Loop: Header=BB4_77 Depth=1
	s_and_saveexec_b32 s21, s7
	s_cbranch_execz .LBB4_660
; %bb.599:                              ;   in Loop: Header=BB4_77 Depth=1
	s_mov_b32 s42, exec_lo
	s_mov_b32 s40, exec_lo
	v_mbcnt_lo_u32_b32 v10, s42, 0
	global_wb scope:SCOPE_DEV
	s_wait_storecnt 0x0
	s_wait_loadcnt_dscnt 0x0
	global_inv scope:SCOPE_DEV
	v_cmpx_eq_u32_e32 0, v10
	s_cbranch_execz .LBB4_601
; %bb.600:                              ;   in Loop: Header=BB4_77 Depth=1
	s_bcnt1_i32_b32 s42, s42
	s_delay_alu instid0(SALU_CYCLE_1)
	v_mov_b32_e32 v34, s42
	s_wait_loadcnt 0x0
	ds_add_u64 v0, v[34:35]
	s_trap 2
.LBB4_601:                              ;   in Loop: Header=BB4_77 Depth=1
	s_or_b32 exec_lo, exec_lo, s40
	s_trap 2
	ds_load_b64 v[10:11], v0
	s_wait_dscnt 0x0
	v_add_nc_u64_e32 v[26:27], v[26:27], v[36:37]
	s_mov_b32 s40, exec_lo
	s_delay_alu instid0(VALU_DEP_1)
	v_cmpx_lt_u64_e64 v[10:11], v[26:27]
	s_cbranch_execz .LBB4_659
; %bb.602:                              ;   in Loop: Header=BB4_77 Depth=1
	s_mov_b32 s42, 0
	s_mov_b32 s45, 0
                                        ; implicit-def: $sgpr43
                                        ; implicit-def: $sgpr44
	s_branch .LBB4_604
.LBB4_603:                              ;   in Loop: Header=BB4_604 Depth=2
	s_or_b32 exec_lo, exec_lo, s47
	s_delay_alu instid0(SALU_CYCLE_1) | instskip(NEXT) | instid1(SALU_CYCLE_1)
	s_and_b32 s46, exec_lo, s56
	s_or_b32 s42, s46, s42
	s_and_not1_b32 s43, s43, exec_lo
	s_and_b32 s46, s44, exec_lo
	s_delay_alu instid0(SALU_CYCLE_1)
	s_or_b32 s43, s43, s46
	s_and_not1_b32 exec_lo, exec_lo, s42
	s_cbranch_execz .LBB4_657
.LBB4_604:                              ;   Parent Loop BB4_77 Depth=1
                                        ; =>  This Inner Loop Header: Depth=2
	s_add_co_i32 s45, s45, 1
	s_delay_alu instid0(SALU_CYCLE_1) | instskip(SKIP_1) | instid1(SALU_CYCLE_1)
	s_cmp_lg_u32 s45, 0x2710
	s_cselect_b32 s46, -1, 0
	s_and_b32 vcc_lo, exec_lo, s46
	s_cbranch_vccz .LBB4_606
; %bb.605:                              ;   in Loop: Header=BB4_604 Depth=2
	s_mov_b32 s56, -1
	s_or_b32 s44, s44, exec_lo
	s_and_saveexec_b32 s47, s46
	s_cbranch_execz .LBB4_603
	s_branch .LBB4_607
.LBB4_606:                              ;   in Loop: Header=BB4_604 Depth=2
	s_trap 2
	ds_load_b64 v[10:11], v0
	s_and_not1_b32 s46, s46, exec_lo
	s_mov_b32 s45, 0
	s_wait_loadcnt_dscnt 0x0
	flat_load_b32 v10, v[10:11] scope:SCOPE_SYS
	s_wait_loadcnt_dscnt 0x0
	global_inv scope:SCOPE_SYS
	v_cmp_eq_u32_e32 vcc_lo, 0, v10
	s_and_b32 s47, vcc_lo, exec_lo
	s_delay_alu instid0(SALU_CYCLE_1)
	s_or_b32 s46, s46, s47
	s_mov_b32 s56, -1
	s_or_b32 s44, s44, exec_lo
	s_and_saveexec_b32 s47, s46
	s_cbranch_execz .LBB4_603
.LBB4_607:                              ;   in Loop: Header=BB4_604 Depth=2
	s_sleep 1
	s_trap 2
	ds_load_b64 v[10:11], v0
	s_wait_dscnt 0x0
	s_and_not1_b32 s44, s44, exec_lo
	v_cmp_ge_u64_e32 vcc_lo, v[10:11], v[26:27]
	s_or_not1_b32 s56, vcc_lo, exec_lo
	s_branch .LBB4_603
.LBB4_608:                              ;   in Loop: Header=BB4_77 Depth=1
	s_or_b32 exec_lo, exec_lo, s21
	s_and_saveexec_b32 s21, s43
	s_delay_alu instid0(SALU_CYCLE_1)
	s_xor_b32 s21, exec_lo, s21
	s_cbranch_execz .LBB4_610
; %bb.609:                              ;   in Loop: Header=BB4_77 Depth=1
	ds_store_b32 v0, v116
	s_trap 2
.LBB4_610:                              ;   in Loop: Header=BB4_77 Depth=1
	s_or_b32 exec_lo, exec_lo, s20
	;;#ASMSTART
	s_wakeup
	;;#ASMEND
.LBB4_611:                              ;   in Loop: Header=BB4_77 Depth=1
	s_or_b32 exec_lo, exec_lo, s19
.LBB4_612:                              ;   in Loop: Header=BB4_77 Depth=1
	s_and_not1_saveexec_b32 s18, s18
	s_cbranch_execz .LBB4_614
; %bb.613:                              ;   in Loop: Header=BB4_77 Depth=1
	;;#ASMSTART
	s_waitcnt lgkmcnt(0) vmcnt(0)
	;;#ASMEND
	s_barrier_signal -1
	s_barrier_wait -1
.LBB4_614:                              ;   in Loop: Header=BB4_77 Depth=1
	s_or_b32 exec_lo, exec_lo, s18
.LBB4_615:                              ;   in Loop: Header=BB4_77 Depth=1
	s_delay_alu instid0(SALU_CYCLE_1)
	s_or_b32 exec_lo, exec_lo, s16
	s_mov_b32 s18, 0
	s_mov_b32 s16, s40
	s_mov_b32 s19, exec_lo
	v_cmpx_ne_u32_e32 0, v11
	s_xor_b32 s19, exec_lo, s19
; %bb.616:                              ;   in Loop: Header=BB4_77 Depth=1
	s_and_not1_b32 s16, s40, exec_lo
	s_and_b32 s18, s5, exec_lo
	s_delay_alu instid0(SALU_CYCLE_1)
	s_or_b32 s16, s16, s18
	s_and_b32 s18, s6, exec_lo
; %bb.617:                              ;   in Loop: Header=BB4_77 Depth=1
	s_or_b32 exec_lo, exec_lo, s19
	s_delay_alu instid0(SALU_CYCLE_1)
	s_and_not1_b32 s19, s40, exec_lo
	s_and_b32 s16, s16, exec_lo
	s_and_b32 s18, s18, exec_lo
	s_or_b32 s16, s19, s16
.LBB4_618:                              ;   in Loop: Header=BB4_77 Depth=1
	s_or_b32 exec_lo, exec_lo, s17
	s_delay_alu instid0(SALU_CYCLE_1) | instskip(SKIP_1) | instid1(SALU_CYCLE_1)
	s_and_not1_b32 s17, s40, exec_lo
	s_and_b32 s16, s16, exec_lo
                                        ; implicit-def: $vgpr84
                                        ; implicit-def: $vgpr42
                                        ; implicit-def: $vgpr10_vgpr11
	s_or_b32 s16, s17, s16
	s_and_b32 s17, s18, exec_lo
.LBB4_619:                              ;   in Loop: Header=BB4_77 Depth=1
	s_and_not1_saveexec_b32 s18, s42
	s_cbranch_execz .LBB4_988
; %bb.620:                              ;   in Loop: Header=BB4_77 Depth=1
	v_mov_b32_e32 v12, 0
	s_and_saveexec_b32 s19, s15
	s_cbranch_execz .LBB4_900
; %bb.621:                              ;   in Loop: Header=BB4_77 Depth=1
	s_and_saveexec_b32 s15, s0
	s_cbranch_execz .LBB4_623
; %bb.622:                              ;   in Loop: Header=BB4_77 Depth=1
	s_trap 2
	ds_load_b64 v[12:13], v0
	s_wait_dscnt 0x0
	v_add_nc_u64_e32 v[10:11], v[12:13], v[10:11]
	ds_store_b64 v0, v[10:11]
	ds_store_b64 v0, v[48:49]
.LBB4_623:                              ;   in Loop: Header=BB4_77 Depth=1
	s_or_b32 exec_lo, exec_lo, s15
	v_and_b32_e32 v10, 8, v114
	v_min_i32_e32 v84, v84, v42
	s_mov_b32 s20, exec_lo
	s_delay_alu instid0(VALU_DEP_2)
	v_cmpx_ne_u32_e32 0, v10
	s_cbranch_execz .LBB4_645
; %bb.624:                              ;   in Loop: Header=BB4_77 Depth=1
	s_wait_loadcnt_dscnt 0x1
	v_add_nc_u64_e32 v[12:13], 8, v[32:33]
	v_add_nc_u64_e32 v[10:11], 1, v[8:9]
	s_mov_b32 s21, exec_lo
	s_delay_alu instid0(VALU_DEP_1)
	v_cmpx_lt_u64_e64 v[12:13], v[10:11]
	s_cbranch_execz .LBB4_636
; %bb.625:                              ;   in Loop: Header=BB4_77 Depth=1
	v_and_b32_e32 v9, 64, v114
	s_mov_b32 s42, 0
	s_mov_b32 s46, 0
                                        ; implicit-def: $sgpr43
                                        ; implicit-def: $sgpr44
                                        ; implicit-def: $sgpr45
	s_delay_alu instid0(VALU_DEP_1)
	v_cmp_eq_u32_e32 vcc_lo, 0, v9
	s_branch .LBB4_629
.LBB4_626:                              ;   in Loop: Header=BB4_629 Depth=2
	s_wait_loadcnt_dscnt 0x0
	v_add_nc_u64_e32 v[12:13], 8, v[32:33]
	s_or_b32 s57, s57, exec_lo
	s_delay_alu instid0(VALU_DEP_1)
	v_cmp_ge_u64_e64 s15, v[12:13], v[10:11]
	s_or_not1_b32 s56, s15, exec_lo
.LBB4_627:                              ;   in Loop: Header=BB4_629 Depth=2
	s_or_b32 exec_lo, exec_lo, s59
	s_delay_alu instid0(SALU_CYCLE_1)
	s_and_not1_b32 s15, s45, exec_lo
	s_and_b32 s45, s57, exec_lo
	s_and_not1_b32 s44, s44, exec_lo
	s_and_b32 s56, s56, exec_lo
	s_or_b32 s45, s15, s45
	s_or_b32 s44, s44, s56
.LBB4_628:                              ;   in Loop: Header=BB4_629 Depth=2
	s_or_b32 exec_lo, exec_lo, s47
	s_delay_alu instid0(SALU_CYCLE_1) | instskip(NEXT) | instid1(SALU_CYCLE_1)
	s_and_b32 s15, exec_lo, s44
	s_or_b32 s42, s15, s42
	s_and_not1_b32 s15, s43, exec_lo
	s_and_b32 s43, s45, exec_lo
	s_delay_alu instid0(SALU_CYCLE_1)
	s_or_b32 s43, s15, s43
	s_and_not1_b32 exec_lo, exec_lo, s42
	s_cbranch_execz .LBB4_633
.LBB4_629:                              ;   Parent Loop BB4_77 Depth=1
                                        ; =>  This Inner Loop Header: Depth=2
	s_sleep 1
	s_wait_loadcnt_dscnt 0x0
	flat_load_b64 v[32:33], v[20:21] scope:SCOPE_SYS
	s_or_b32 s45, s45, exec_lo
	s_or_b32 s44, s44, exec_lo
                                        ; implicit-def: $vgpr9
	s_wait_xcnt 0x0
	s_and_saveexec_b32 s47, vcc_lo
	s_cbranch_execz .LBB4_628
; %bb.630:                              ;   in Loop: Header=BB4_629 Depth=2
	s_cmp_lt_i32 s46, 0x270f
	s_mov_b32 s56, -1
	s_cselect_b32 s58, -1, 0
	s_cmp_gt_i32 s46, 0x270e
	s_cbranch_scc0 .LBB4_632
; %bb.631:                              ;   in Loop: Header=BB4_629 Depth=2
	s_trap 2
	ds_load_b64 v[12:13], v0
	s_and_not1_b32 s46, s58, exec_lo
	s_mov_b32 s57, 0
	s_wait_storecnt 0x0
	s_wait_loadcnt_dscnt 0x0
	flat_load_b32 v9, v[12:13] scope:SCOPE_SYS
	s_wait_loadcnt_dscnt 0x0
	global_inv scope:SCOPE_SYS
	v_cmp_eq_u32_e64 s15, 0, v9
	s_and_b32 s15, s15, exec_lo
	s_delay_alu instid0(SALU_CYCLE_1)
	s_or_b32 s58, s46, s15
	s_mov_b32 s46, 0
	s_and_saveexec_b32 s59, s58
	s_cbranch_execz .LBB4_627
	s_branch .LBB4_626
.LBB4_632:                              ;   in Loop: Header=BB4_629 Depth=2
	s_add_co_i32 s46, s46, 1
	s_mov_b32 s57, -1
                                        ; implicit-def: $vgpr9
	s_and_saveexec_b32 s59, s58
	s_cbranch_execz .LBB4_627
	s_branch .LBB4_626
.LBB4_633:                              ;   in Loop: Header=BB4_77 Depth=1
	s_or_b32 exec_lo, exec_lo, s42
	s_xor_b32 s15, s43, -1
	s_delay_alu instid0(SALU_CYCLE_1) | instskip(NEXT) | instid1(SALU_CYCLE_1)
	s_and_saveexec_b32 s42, s15
	s_xor_b32 s15, exec_lo, s42
	s_cbranch_execz .LBB4_635
; %bb.634:                              ;   in Loop: Header=BB4_77 Depth=1
	v_or_b32_e32 v114, 64, v114
	s_wait_storecnt 0x0
	s_wait_loadcnt_dscnt 0x0
	ds_store_b32 v0, v9
	s_trap 2
.LBB4_635:                              ;   in Loop: Header=BB4_77 Depth=1
	s_or_b32 exec_lo, exec_lo, s15
.LBB4_636:                              ;   in Loop: Header=BB4_77 Depth=1
	s_delay_alu instid0(SALU_CYCLE_1) | instskip(SKIP_4) | instid1(VALU_DEP_2)
	s_or_b32 exec_lo, exec_lo, s21
	v_and_b32_e32 v9, 0x100, v114
	v_and_b32_e32 v34, 7, v8
	s_mov_b32 s15, -1
	;;#ASMSTART
	s_wakeup
	;;#ASMEND
	v_cmp_ne_u32_e32 vcc_lo, 0, v9
                                        ; implicit-def: $vgpr8_vgpr9
	s_and_saveexec_b32 s21, vcc_lo
	s_cbranch_execz .LBB4_640
; %bb.637:                              ;   in Loop: Header=BB4_77 Depth=1
	v_mad_nc_u64_u32 v[12:13], v34, 24, v[6:7]
	v_ashrrev_i32_e32 v85, 31, v84
	s_clause 0x1
	flat_load_b32 v8, v[12:13]
	flat_store_b64 v[12:13], v[84:85] offset:8
	s_wait_loadcnt_dscnt 0x1
	v_cmp_eq_u32_e64 s15, 1, v8
	v_cmp_ne_u32_e32 vcc_lo, 1, v8
                                        ; implicit-def: $vgpr8_vgpr9
	s_wait_xcnt 0x0
	s_and_saveexec_b32 s42, s15
	s_cbranch_execz .LBB4_639
; %bb.638:                              ;   in Loop: Header=BB4_77 Depth=1
	flat_load_b32 v8, v[12:13] offset:4 scope:SCOPE_SYS
	s_wait_loadcnt_dscnt 0x0
	v_ashrrev_i32_e32 v9, 31, v8
.LBB4_639:                              ;   in Loop: Header=BB4_77 Depth=1
	s_wait_xcnt 0x0
	s_or_b32 exec_lo, exec_lo, s42
	s_delay_alu instid0(SALU_CYCLE_1)
	s_or_not1_b32 s15, vcc_lo, exec_lo
.LBB4_640:                              ;   in Loop: Header=BB4_77 Depth=1
	s_or_b32 exec_lo, exec_lo, s21
	s_and_saveexec_b32 s21, s15
; %bb.641:                              ;   in Loop: Header=BB4_77 Depth=1
	v_mul_u64_e32 v[8:9], v[34:35], v[22:23]
; %bb.642:                              ;   in Loop: Header=BB4_77 Depth=1
	s_or_b32 exec_lo, exec_lo, s21
	s_delay_alu instid0(VALU_DEP_1)
	v_add_nc_u64_e32 v[8:9], v[24:25], v[8:9]
	v_and_b32_e32 v12, 0x2000, v114
	s_mov_b32 s15, exec_lo
	ds_store_b64 v0, v[8:9] offset:784
	v_cmpx_ne_u32_e32 0, v12
	s_cbranch_execz .LBB4_644
; %bb.643:                              ;   in Loop: Header=BB4_77 Depth=1
	ds_load_b64 v[8:9], v0 offset:872
	s_wait_dscnt 0x0
	v_add_nc_u64_e32 v[8:9], 1, v[8:9]
	ds_store_b64 v0, v[8:9] offset:872
.LBB4_644:                              ;   in Loop: Header=BB4_77 Depth=1
	s_or_b32 exec_lo, exec_lo, s15
	v_mov_b64_e32 v[8:9], v[10:11]
.LBB4_645:                              ;   in Loop: Header=BB4_77 Depth=1
	s_or_b32 exec_lo, exec_lo, s20
	s_and_saveexec_b32 s15, s3
	s_cbranch_execz .LBB4_683
; %bb.646:                              ;   in Loop: Header=BB4_77 Depth=1
	s_and_saveexec_b32 s20, s4
	s_delay_alu instid0(SALU_CYCLE_1)
	s_xor_b32 s20, exec_lo, s20
	s_cbranch_execz .LBB4_680
; %bb.647:                              ;   in Loop: Header=BB4_77 Depth=1
	s_and_saveexec_b32 s21, s7
	s_cbranch_execz .LBB4_679
; %bb.648:                              ;   in Loop: Header=BB4_77 Depth=1
	s_mov_b32 s43, exec_lo
	s_mov_b32 s42, exec_lo
	v_mbcnt_lo_u32_b32 v10, s43, 0
	global_wb scope:SCOPE_DEV
	s_wait_storecnt 0x0
	s_wait_loadcnt_dscnt 0x0
	global_inv scope:SCOPE_DEV
	v_cmpx_eq_u32_e32 0, v10
	s_cbranch_execz .LBB4_650
; %bb.649:                              ;   in Loop: Header=BB4_77 Depth=1
	s_bcnt1_i32_b32 s43, s43
	s_delay_alu instid0(SALU_CYCLE_1)
	v_mov_b32_e32 v34, s43
	s_wait_loadcnt 0x0
	ds_add_u64 v0, v[34:35]
	s_trap 2
.LBB4_650:                              ;   in Loop: Header=BB4_77 Depth=1
	s_or_b32 exec_lo, exec_lo, s42
	s_trap 2
	ds_load_b64 v[10:11], v0
	s_wait_dscnt 0x0
	v_add_nc_u64_e32 v[26:27], v[26:27], v[36:37]
	s_mov_b32 s42, exec_lo
	s_delay_alu instid0(VALU_DEP_1)
	v_cmpx_lt_u64_e64 v[10:11], v[26:27]
	s_cbranch_execz .LBB4_678
; %bb.651:                              ;   in Loop: Header=BB4_77 Depth=1
	s_mov_b32 s43, 0
	s_mov_b32 s46, 0
                                        ; implicit-def: $sgpr44
                                        ; implicit-def: $sgpr45
	s_branch .LBB4_653
.LBB4_652:                              ;   in Loop: Header=BB4_653 Depth=2
	s_or_b32 exec_lo, exec_lo, s56
	s_delay_alu instid0(SALU_CYCLE_1) | instskip(NEXT) | instid1(SALU_CYCLE_1)
	s_and_b32 s47, exec_lo, s57
	s_or_b32 s43, s47, s43
	s_and_not1_b32 s44, s44, exec_lo
	s_and_b32 s47, s45, exec_lo
	s_delay_alu instid0(SALU_CYCLE_1)
	s_or_b32 s44, s44, s47
	s_and_not1_b32 exec_lo, exec_lo, s43
	s_cbranch_execz .LBB4_676
.LBB4_653:                              ;   Parent Loop BB4_77 Depth=1
                                        ; =>  This Inner Loop Header: Depth=2
	s_add_co_i32 s46, s46, 1
	s_delay_alu instid0(SALU_CYCLE_1) | instskip(SKIP_1) | instid1(SALU_CYCLE_1)
	s_cmp_lg_u32 s46, 0x2710
	s_cselect_b32 s47, -1, 0
	s_and_b32 vcc_lo, exec_lo, s47
	s_cbranch_vccz .LBB4_655
; %bb.654:                              ;   in Loop: Header=BB4_653 Depth=2
	s_mov_b32 s57, -1
	s_or_b32 s45, s45, exec_lo
	s_and_saveexec_b32 s56, s47
	s_cbranch_execz .LBB4_652
	s_branch .LBB4_656
.LBB4_655:                              ;   in Loop: Header=BB4_653 Depth=2
	s_trap 2
	ds_load_b64 v[10:11], v0
	s_and_not1_b32 s47, s47, exec_lo
	s_mov_b32 s46, 0
	s_wait_loadcnt_dscnt 0x0
	flat_load_b32 v10, v[10:11] scope:SCOPE_SYS
	s_wait_loadcnt_dscnt 0x0
	global_inv scope:SCOPE_SYS
	v_cmp_eq_u32_e32 vcc_lo, 0, v10
	s_and_b32 s56, vcc_lo, exec_lo
	s_delay_alu instid0(SALU_CYCLE_1)
	s_or_b32 s47, s47, s56
	s_mov_b32 s57, -1
	s_or_b32 s45, s45, exec_lo
	s_and_saveexec_b32 s56, s47
	s_cbranch_execz .LBB4_652
.LBB4_656:                              ;   in Loop: Header=BB4_653 Depth=2
	s_sleep 1
	s_trap 2
	ds_load_b64 v[10:11], v0
	s_wait_dscnt 0x0
	s_and_not1_b32 s45, s45, exec_lo
	v_cmp_ge_u64_e32 vcc_lo, v[10:11], v[26:27]
	s_or_not1_b32 s57, vcc_lo, exec_lo
	s_branch .LBB4_652
.LBB4_657:                              ;   in Loop: Header=BB4_77 Depth=1
	s_or_b32 exec_lo, exec_lo, s42
	s_and_saveexec_b32 s42, s43
	s_delay_alu instid0(SALU_CYCLE_1)
	s_xor_b32 s42, exec_lo, s42
	s_cbranch_execz .LBB4_659
; %bb.658:                              ;   in Loop: Header=BB4_77 Depth=1
	ds_store_b32 v0, v116
	s_trap 2
.LBB4_659:                              ;   in Loop: Header=BB4_77 Depth=1
	s_or_b32 exec_lo, exec_lo, s40
	;;#ASMSTART
	s_wakeup
	;;#ASMEND
.LBB4_660:                              ;   in Loop: Header=BB4_77 Depth=1
	s_or_b32 exec_lo, exec_lo, s21
.LBB4_661:                              ;   in Loop: Header=BB4_77 Depth=1
	s_and_not1_saveexec_b32 s20, s20
	s_cbranch_execz .LBB4_663
; %bb.662:                              ;   in Loop: Header=BB4_77 Depth=1
	global_wb scope:SCOPE_DEV
	s_wait_storecnt 0x0
	s_wait_loadcnt_dscnt 0x0
	global_inv scope:SCOPE_DEV
	s_barrier_signal -1
	s_barrier_wait -1
.LBB4_663:                              ;   in Loop: Header=BB4_77 Depth=1
	s_or_b32 exec_lo, exec_lo, s20
.LBB4_664:                              ;   in Loop: Header=BB4_77 Depth=1
	s_delay_alu instid0(SALU_CYCLE_1) | instskip(SKIP_3) | instid1(VALU_DEP_1)
	s_or_b32 exec_lo, exec_lo, s16
	s_trap 2
	ds_load_b32 v85, v0
	v_and_b32_e32 v10, 0x4000, v114
	v_cmp_ne_u32_e32 vcc_lo, 0, v10
	s_and_b32 s20, s29, vcc_lo
	s_delay_alu instid0(SALU_CYCLE_1)
	s_and_saveexec_b32 s16, s20
	s_cbranch_execz .LBB4_702
; %bb.665:                              ;   in Loop: Header=BB4_77 Depth=1
	s_and_saveexec_b32 s20, s4
	s_delay_alu instid0(SALU_CYCLE_1)
	s_xor_b32 s20, exec_lo, s20
	s_cbranch_execz .LBB4_699
; %bb.666:                              ;   in Loop: Header=BB4_77 Depth=1
	s_and_saveexec_b32 s21, s7
	s_cbranch_execz .LBB4_698
; %bb.667:                              ;   in Loop: Header=BB4_77 Depth=1
	s_mov_b32 s42, exec_lo
	s_mov_b32 s40, exec_lo
	v_mbcnt_lo_u32_b32 v10, s42, 0
	global_wb scope:SCOPE_DEV
	s_wait_storecnt 0x0
	s_wait_loadcnt_dscnt 0x0
	global_inv scope:SCOPE_DEV
	v_cmpx_eq_u32_e32 0, v10
	s_cbranch_execz .LBB4_669
; %bb.668:                              ;   in Loop: Header=BB4_77 Depth=1
	s_bcnt1_i32_b32 s42, s42
	s_delay_alu instid0(SALU_CYCLE_1)
	v_mov_b32_e32 v34, s42
	s_wait_loadcnt 0x0
	ds_add_u64 v0, v[34:35]
	s_trap 2
.LBB4_669:                              ;   in Loop: Header=BB4_77 Depth=1
	s_or_b32 exec_lo, exec_lo, s40
	s_trap 2
	ds_load_b64 v[10:11], v0
	s_wait_dscnt 0x0
	v_add_nc_u64_e32 v[26:27], v[26:27], v[36:37]
	s_mov_b32 s40, exec_lo
	s_delay_alu instid0(VALU_DEP_1)
	v_cmpx_lt_u64_e64 v[10:11], v[26:27]
	s_cbranch_execz .LBB4_697
; %bb.670:                              ;   in Loop: Header=BB4_77 Depth=1
	s_mov_b32 s42, 0
	s_mov_b32 s45, 0
                                        ; implicit-def: $sgpr43
                                        ; implicit-def: $sgpr44
	s_branch .LBB4_672
.LBB4_671:                              ;   in Loop: Header=BB4_672 Depth=2
	s_or_b32 exec_lo, exec_lo, s47
	s_delay_alu instid0(SALU_CYCLE_1) | instskip(NEXT) | instid1(SALU_CYCLE_1)
	s_and_b32 s46, exec_lo, s56
	s_or_b32 s42, s46, s42
	s_and_not1_b32 s43, s43, exec_lo
	s_and_b32 s46, s44, exec_lo
	s_delay_alu instid0(SALU_CYCLE_1)
	s_or_b32 s43, s43, s46
	s_and_not1_b32 exec_lo, exec_lo, s42
	s_cbranch_execz .LBB4_695
.LBB4_672:                              ;   Parent Loop BB4_77 Depth=1
                                        ; =>  This Inner Loop Header: Depth=2
	s_add_co_i32 s45, s45, 1
	s_delay_alu instid0(SALU_CYCLE_1) | instskip(SKIP_1) | instid1(SALU_CYCLE_1)
	s_cmp_lg_u32 s45, 0x2710
	s_cselect_b32 s46, -1, 0
	s_and_b32 vcc_lo, exec_lo, s46
	s_cbranch_vccz .LBB4_674
; %bb.673:                              ;   in Loop: Header=BB4_672 Depth=2
	s_mov_b32 s56, -1
	s_or_b32 s44, s44, exec_lo
	s_and_saveexec_b32 s47, s46
	s_cbranch_execz .LBB4_671
	s_branch .LBB4_675
.LBB4_674:                              ;   in Loop: Header=BB4_672 Depth=2
	s_trap 2
	ds_load_b64 v[10:11], v0
	s_and_not1_b32 s46, s46, exec_lo
	s_mov_b32 s45, 0
	s_wait_loadcnt_dscnt 0x0
	flat_load_b32 v10, v[10:11] scope:SCOPE_SYS
	s_wait_loadcnt_dscnt 0x0
	global_inv scope:SCOPE_SYS
	v_cmp_eq_u32_e32 vcc_lo, 0, v10
	s_and_b32 s47, vcc_lo, exec_lo
	s_delay_alu instid0(SALU_CYCLE_1)
	s_or_b32 s46, s46, s47
	s_mov_b32 s56, -1
	s_or_b32 s44, s44, exec_lo
	s_and_saveexec_b32 s47, s46
	s_cbranch_execz .LBB4_671
.LBB4_675:                              ;   in Loop: Header=BB4_672 Depth=2
	s_sleep 1
	s_trap 2
	ds_load_b64 v[10:11], v0
	s_wait_dscnt 0x0
	s_and_not1_b32 s44, s44, exec_lo
	v_cmp_ge_u64_e32 vcc_lo, v[10:11], v[26:27]
	s_or_not1_b32 s56, vcc_lo, exec_lo
	s_branch .LBB4_671
.LBB4_676:                              ;   in Loop: Header=BB4_77 Depth=1
	s_or_b32 exec_lo, exec_lo, s43
	s_and_saveexec_b32 s43, s44
	s_delay_alu instid0(SALU_CYCLE_1)
	s_xor_b32 s43, exec_lo, s43
	s_cbranch_execz .LBB4_678
; %bb.677:                              ;   in Loop: Header=BB4_77 Depth=1
	ds_store_b32 v0, v116
	s_trap 2
.LBB4_678:                              ;   in Loop: Header=BB4_77 Depth=1
	s_or_b32 exec_lo, exec_lo, s42
	;;#ASMSTART
	s_wakeup
	;;#ASMEND
.LBB4_679:                              ;   in Loop: Header=BB4_77 Depth=1
	s_or_b32 exec_lo, exec_lo, s21
.LBB4_680:                              ;   in Loop: Header=BB4_77 Depth=1
	s_and_not1_saveexec_b32 s20, s20
	s_cbranch_execz .LBB4_682
; %bb.681:                              ;   in Loop: Header=BB4_77 Depth=1
	global_wb scope:SCOPE_DEV
	s_wait_storecnt 0x0
	s_wait_loadcnt_dscnt 0x0
	global_inv scope:SCOPE_DEV
	s_barrier_signal -1
	s_barrier_wait -1
.LBB4_682:                              ;   in Loop: Header=BB4_77 Depth=1
	s_or_b32 exec_lo, exec_lo, s20
.LBB4_683:                              ;   in Loop: Header=BB4_77 Depth=1
	s_delay_alu instid0(SALU_CYCLE_1) | instskip(SKIP_3) | instid1(VALU_DEP_1)
	s_or_b32 exec_lo, exec_lo, s15
	s_trap 2
	ds_load_b32 v85, v0
	v_and_b32_e32 v10, 0x4000, v114
	v_cmp_ne_u32_e32 vcc_lo, 0, v10
	s_and_b32 s20, s29, vcc_lo
	s_delay_alu instid0(SALU_CYCLE_1)
	s_and_saveexec_b32 s15, s20
	s_cbranch_execz .LBB4_755
; %bb.684:                              ;   in Loop: Header=BB4_77 Depth=1
	s_and_saveexec_b32 s20, s4
	s_delay_alu instid0(SALU_CYCLE_1)
	s_xor_b32 s20, exec_lo, s20
	s_cbranch_execz .LBB4_752
; %bb.685:                              ;   in Loop: Header=BB4_77 Depth=1
	s_and_saveexec_b32 s21, s7
	s_cbranch_execz .LBB4_751
; %bb.686:                              ;   in Loop: Header=BB4_77 Depth=1
	s_mov_b32 s43, exec_lo
	s_mov_b32 s42, exec_lo
	v_mbcnt_lo_u32_b32 v10, s43, 0
	global_wb scope:SCOPE_DEV
	s_wait_storecnt 0x0
	s_wait_loadcnt_dscnt 0x0
	global_inv scope:SCOPE_DEV
	v_cmpx_eq_u32_e32 0, v10
	s_cbranch_execz .LBB4_688
; %bb.687:                              ;   in Loop: Header=BB4_77 Depth=1
	s_bcnt1_i32_b32 s43, s43
	s_delay_alu instid0(SALU_CYCLE_1)
	v_mov_b32_e32 v34, s43
	s_wait_loadcnt 0x0
	ds_add_u64 v0, v[34:35]
	s_trap 2
.LBB4_688:                              ;   in Loop: Header=BB4_77 Depth=1
	s_or_b32 exec_lo, exec_lo, s42
	s_trap 2
	ds_load_b64 v[10:11], v0
	s_wait_dscnt 0x0
	v_add_nc_u64_e32 v[26:27], v[26:27], v[36:37]
	s_mov_b32 s42, exec_lo
	s_delay_alu instid0(VALU_DEP_1)
	v_cmpx_lt_u64_e64 v[10:11], v[26:27]
	s_cbranch_execz .LBB4_750
; %bb.689:                              ;   in Loop: Header=BB4_77 Depth=1
	s_mov_b32 s43, 0
	s_mov_b32 s46, 0
                                        ; implicit-def: $sgpr44
                                        ; implicit-def: $sgpr45
	s_branch .LBB4_691
.LBB4_690:                              ;   in Loop: Header=BB4_691 Depth=2
	s_or_b32 exec_lo, exec_lo, s56
	s_delay_alu instid0(SALU_CYCLE_1) | instskip(NEXT) | instid1(SALU_CYCLE_1)
	s_and_b32 s47, exec_lo, s57
	s_or_b32 s43, s47, s43
	s_and_not1_b32 s44, s44, exec_lo
	s_and_b32 s47, s45, exec_lo
	s_delay_alu instid0(SALU_CYCLE_1)
	s_or_b32 s44, s44, s47
	s_and_not1_b32 exec_lo, exec_lo, s43
	s_cbranch_execz .LBB4_748
.LBB4_691:                              ;   Parent Loop BB4_77 Depth=1
                                        ; =>  This Inner Loop Header: Depth=2
	s_add_co_i32 s46, s46, 1
	s_delay_alu instid0(SALU_CYCLE_1) | instskip(SKIP_1) | instid1(SALU_CYCLE_1)
	s_cmp_lg_u32 s46, 0x2710
	s_cselect_b32 s47, -1, 0
	s_and_b32 vcc_lo, exec_lo, s47
	s_cbranch_vccz .LBB4_693
; %bb.692:                              ;   in Loop: Header=BB4_691 Depth=2
	s_mov_b32 s57, -1
	s_or_b32 s45, s45, exec_lo
	s_and_saveexec_b32 s56, s47
	s_cbranch_execz .LBB4_690
	s_branch .LBB4_694
.LBB4_693:                              ;   in Loop: Header=BB4_691 Depth=2
	s_trap 2
	ds_load_b64 v[10:11], v0
	s_and_not1_b32 s47, s47, exec_lo
	s_mov_b32 s46, 0
	s_wait_loadcnt_dscnt 0x0
	flat_load_b32 v10, v[10:11] scope:SCOPE_SYS
	s_wait_loadcnt_dscnt 0x0
	global_inv scope:SCOPE_SYS
	v_cmp_eq_u32_e32 vcc_lo, 0, v10
	s_and_b32 s56, vcc_lo, exec_lo
	s_delay_alu instid0(SALU_CYCLE_1)
	s_or_b32 s47, s47, s56
	s_mov_b32 s57, -1
	s_or_b32 s45, s45, exec_lo
	s_and_saveexec_b32 s56, s47
	s_cbranch_execz .LBB4_690
.LBB4_694:                              ;   in Loop: Header=BB4_691 Depth=2
	s_sleep 1
	s_trap 2
	ds_load_b64 v[10:11], v0
	s_wait_dscnt 0x0
	s_and_not1_b32 s45, s45, exec_lo
	v_cmp_ge_u64_e32 vcc_lo, v[10:11], v[26:27]
	s_or_not1_b32 s57, vcc_lo, exec_lo
	s_branch .LBB4_690
.LBB4_695:                              ;   in Loop: Header=BB4_77 Depth=1
	s_or_b32 exec_lo, exec_lo, s42
	s_and_saveexec_b32 s42, s43
	s_delay_alu instid0(SALU_CYCLE_1)
	s_xor_b32 s42, exec_lo, s42
	s_cbranch_execz .LBB4_697
; %bb.696:                              ;   in Loop: Header=BB4_77 Depth=1
	ds_store_b32 v0, v116
	s_trap 2
.LBB4_697:                              ;   in Loop: Header=BB4_77 Depth=1
	s_or_b32 exec_lo, exec_lo, s40
	;;#ASMSTART
	s_wakeup
	;;#ASMEND
.LBB4_698:                              ;   in Loop: Header=BB4_77 Depth=1
	s_or_b32 exec_lo, exec_lo, s21
.LBB4_699:                              ;   in Loop: Header=BB4_77 Depth=1
	s_and_not1_saveexec_b32 s20, s20
	s_cbranch_execz .LBB4_701
; %bb.700:                              ;   in Loop: Header=BB4_77 Depth=1
	global_wb scope:SCOPE_DEV
	s_wait_storecnt 0x0
	s_wait_loadcnt_dscnt 0x0
	global_inv scope:SCOPE_DEV
	s_barrier_signal -1
	s_barrier_wait -1
.LBB4_701:                              ;   in Loop: Header=BB4_77 Depth=1
	s_or_b32 exec_lo, exec_lo, s20
.LBB4_702:                              ;   in Loop: Header=BB4_77 Depth=1
	s_delay_alu instid0(SALU_CYCLE_1)
	s_or_b32 exec_lo, exec_lo, s16
	s_trap 2
	ds_load_b64 v[10:11], v0
	v_min_i32_e32 v84, v84, v42
	s_wait_dscnt 0x0
	v_cmp_eq_u64_e32 vcc_lo, 0, v[10:11]
	s_cbranch_vccnz .LBB4_736
; %bb.703:                              ;   in Loop: Header=BB4_77 Depth=1
	s_trap 2
	ds_load_b64 v[12:13], v0
	s_wait_dscnt 0x0
	v_cmp_eq_u64_e32 vcc_lo, 0, v[12:13]
	s_cbranch_vccnz .LBB4_736
; %bb.704:                              ;   in Loop: Header=BB4_77 Depth=1
	s_mov_b32 s16, -1
	s_and_saveexec_b32 s20, s10
	s_cbranch_execz .LBB4_706
; %bb.705:                              ;   in Loop: Header=BB4_77 Depth=1
	ds_load_b32 v34, v0 offset:720
	s_wait_dscnt 0x0
	v_and_b32_e32 v34, 15, v34
	s_delay_alu instid0(VALU_DEP_1)
	v_cmp_eq_u32_e32 vcc_lo, 0, v34
	s_or_not1_b32 s16, vcc_lo, exec_lo
.LBB4_706:                              ;   in Loop: Header=BB4_77 Depth=1
	s_or_b32 exec_lo, exec_lo, s20
	s_and_saveexec_b32 s20, s13
	s_cbranch_execz .LBB4_708
; %bb.707:                              ;   in Loop: Header=BB4_77 Depth=1
	ds_load_b32 v34, v0 offset:784
	s_wait_dscnt 0x0
	v_and_b32_e32 v34, 15, v34
	s_delay_alu instid0(VALU_DEP_1) | instskip(SKIP_3) | instid1(SALU_CYCLE_1)
	v_cmp_eq_u32_e32 vcc_lo, 0, v34
	s_and_b32 s21, s16, vcc_lo
	s_and_not1_b32 s16, s16, exec_lo
	s_and_b32 s21, s21, exec_lo
	s_or_b32 s16, s16, s21
.LBB4_708:                              ;   in Loop: Header=BB4_77 Depth=1
	s_or_b32 exec_lo, exec_lo, s20
	v_cmp_eq_u32_e32 vcc_lo, 0, v85
	s_xor_b32 s16, s16, -1
	s_mov_b32 s21, -1
	v_cndmask_b32_e64 v86, 0, 1, s16
	v_dual_mov_b32 v85, 0 :: v_dual_cndmask_b32 v34, 0, v84
	v_mov_b32_e32 v97, v0
	s_delay_alu instid0(VALU_DEP_3) | instskip(NEXT) | instid1(VALU_DEP_3)
	v_cmp_ne_u32_e32 vcc_lo, 0, v86
	v_dual_mov_b32 v86, v119 :: v_dual_mov_b32 v96, v34
	s_cbranch_vccnz .LBB4_722
; %bb.709:                              ;   in Loop: Header=BB4_77 Depth=1
	v_ashrrev_i32_e32 v85, 31, v34
	s_mov_b32 s16, exec_lo
	s_delay_alu instid0(VALU_DEP_1) | instskip(NEXT) | instid1(VALU_DEP_1)
	v_lshrrev_b32_e32 v85, 22, v85
	v_add_nc_u32_e32 v85, v34, v85
	s_delay_alu instid0(VALU_DEP_1) | instskip(NEXT) | instid1(VALU_DEP_1)
	v_ashrrev_i32_e32 v85, 10, v85
	v_sub_nc_u32_e32 v99, v85, v119
	s_delay_alu instid0(VALU_DEP_1)
	v_cmpx_lt_i32_e32 0, v99
	s_cbranch_execz .LBB4_713
; %bb.710:                              ;   in Loop: Header=BB4_77 Depth=1
	v_mov_b64_e32 v[86:87], v[82:83]
	s_mov_b32 s20, 0
.LBB4_711:                              ;   Parent Loop BB4_77 Depth=1
                                        ; =>  This Inner Loop Header: Depth=2
	s_delay_alu instid0(VALU_DEP_1)
	v_add_nc_u64_e32 v[96:97], v[10:11], v[86:87]
	v_sub_nc_u32_e32 v99, v99, v36
	s_clause 0x1
	global_load_b128 v[100:103], v[96:97], off th:TH_LOAD_NT
	global_load_b128 v[44:47], v[96:97], off offset:512 th:TH_LOAD_NT
	s_wait_xcnt 0x0
	v_add_nc_u64_e32 v[96:97], v[12:13], v[86:87]
	v_cmp_gt_i32_e32 vcc_lo, 1, v99
	v_add_nc_u64_e32 v[86:87], v[86:87], v[66:67]
	s_wait_loadcnt 0x1
	global_store_b128 v[96:97], v[100:103], off th:TH_STORE_NT
	s_wait_loadcnt 0x0
	global_store_b128 v[96:97], v[44:47], off offset:512 th:TH_STORE_NT
	s_or_b32 s20, vcc_lo, s20
	s_wait_xcnt 0x0
	s_and_not1_b32 exec_lo, exec_lo, s20
	s_cbranch_execnz .LBB4_711
; %bb.712:                              ;   in Loop: Header=BB4_77 Depth=1
	s_or_b32 exec_lo, exec_lo, s20
.LBB4_713:                              ;   in Loop: Header=BB4_77 Depth=1
	s_delay_alu instid0(SALU_CYCLE_1) | instskip(SKIP_3) | instid1(VALU_DEP_1)
	s_or_b32 exec_lo, exec_lo, s16
	v_dual_mov_b32 v85, 0 :: v_dual_lshlrev_b32 v98, 10, v85
	s_mov_b32 s21, 0
	s_mov_b32 s20, exec_lo
                                        ; implicit-def: $vgpr96
                                        ; implicit-def: $vgpr97
                                        ; implicit-def: $vgpr86
	v_cmpx_ne_u32_e64 v34, v98
	s_cbranch_execz .LBB4_721
; %bb.714:                              ;   in Loop: Header=BB4_77 Depth=1
	v_dual_lshlrev_b32 v85, 5, v99 :: v_dual_sub_nc_u32 v87, v34, v98
	s_mov_b32 s21, exec_lo
	s_delay_alu instid0(VALU_DEP_1) | instskip(NEXT) | instid1(VALU_DEP_1)
	v_dual_sub_nc_u32 v85, v40, v85 :: v_dual_ashrrev_i32 v96, 31, v87
	v_dual_ashrrev_i32 v86, 31, v85 :: v_dual_lshrrev_b32 v96, 23, v96
	s_delay_alu instid0(VALU_DEP_1) | instskip(NEXT) | instid1(VALU_DEP_1)
	v_lshrrev_b32_e32 v86, 27, v86
	v_add_nc_u32_e32 v86, v85, v86
	s_delay_alu instid0(VALU_DEP_1) | instskip(NEXT) | instid1(VALU_DEP_1)
	v_and_b32_e32 v97, 0xffffffe0, v86
	v_dual_add_nc_u32 v96, v87, v96 :: v_dual_sub_nc_u32 v100, v85, v97
	s_delay_alu instid0(VALU_DEP_1) | instskip(SKIP_1) | instid1(VALU_DEP_2)
	v_and_b32_e32 v99, 0xfffffe00, v96
	v_dual_ashrrev_i32 v97, 5, v86 :: v_dual_ashrrev_i32 v96, 9, v96
	v_dual_lshlrev_b32 v85, 4, v100 :: v_dual_sub_nc_u32 v101, v87, v99
	s_delay_alu instid0(VALU_DEP_1) | instskip(NEXT) | instid1(VALU_DEP_2)
	v_lshl_add_u32 v86, v97, 9, v85
	v_cmp_lt_i32_e32 vcc_lo, 15, v101
	s_delay_alu instid0(VALU_DEP_4) | instskip(NEXT) | instid1(VALU_DEP_1)
	v_add_co_ci_u32_e64 v96, null, 0, v96, vcc_lo
	v_dual_sub_nc_u32 v85, v87, v86 :: v_dual_sub_nc_u32 v102, v96, v97
	s_delay_alu instid0(VALU_DEP_1)
	v_cmpx_lt_i32_e32 15, v85
	s_cbranch_execz .LBB4_718
; %bb.715:                              ;   in Loop: Header=BB4_77 Depth=1
	v_add_nc_u32_e32 v86, v86, v98
	s_mov_b32 s40, 0
	s_delay_alu instid0(VALU_DEP_1)
	v_ashrrev_i32_e32 v87, 31, v86
.LBB4_716:                              ;   Parent Loop BB4_77 Depth=1
                                        ; =>  This Inner Loop Header: Depth=2
	s_delay_alu instid0(VALU_DEP_1) | instskip(SKIP_1) | instid1(VALU_DEP_1)
	v_add_nc_u64_e32 v[96:97], v[10:11], v[86:87]
	v_dual_sub_nc_u32 v85, v85, v118 :: v_dual_sub_nc_u32 v102, v102, v36
	v_cmp_gt_i32_e64 s16, 16, v85
	global_load_b128 v[44:47], v[96:97], off th:TH_LOAD_NT
	s_wait_xcnt 0x0
	v_add_nc_u64_e32 v[96:97], v[12:13], v[86:87]
	v_add_nc_u64_e32 v[86:87], v[86:87], v[80:81]
	s_or_b32 s40, s16, s40
	s_wait_loadcnt 0x0
	global_store_b128 v[96:97], v[44:47], off th:TH_STORE_NT
	s_wait_xcnt 0x0
	s_and_not1_b32 exec_lo, exec_lo, s40
	s_cbranch_execnz .LBB4_716
; %bb.717:                              ;   in Loop: Header=BB4_77 Depth=1
	s_or_b32 exec_lo, exec_lo, s40
.LBB4_718:                              ;   in Loop: Header=BB4_77 Depth=1
	s_delay_alu instid0(SALU_CYCLE_1) | instskip(SKIP_3) | instid1(VALU_DEP_1)
	s_or_b32 exec_lo, exec_lo, s21
	v_dual_mov_b32 v85, 0 :: v_dual_bitop2_b32 v87, 15, v34 bitop3:0x40
	s_mov_b32 s21, 0
	s_mov_b32 s40, exec_lo
                                        ; implicit-def: $vgpr97
                                        ; implicit-def: $vgpr86
	v_cndmask_b32_e32 v96, v101, v87, vcc_lo
	s_delay_alu instid0(VALU_DEP_1)
	v_cmpx_ne_u32_e32 0, v96
	s_cbranch_execz .LBB4_720
; %bb.719:                              ;   in Loop: Header=BB4_77 Depth=1
	v_cmp_lt_i32_e64 s16, 0, v102
	s_mov_b32 s21, exec_lo
	v_dual_sub_nc_u32 v86, v101, v87 :: v_dual_cndmask_b32 v85, 0, v36, s16
	s_delay_alu instid0(VALU_DEP_1) | instskip(NEXT) | instid1(VALU_DEP_2)
	v_cndmask_b32_e32 v86, 0, v86, vcc_lo
	v_sub_nc_u32_e32 v85, v85, v102
	s_delay_alu instid0(VALU_DEP_1) | instskip(NEXT) | instid1(VALU_DEP_1)
	v_lshl_add_u32 v97, v85, 5, v100
	v_ashrrev_i32_e32 v85, 31, v97
	s_delay_alu instid0(VALU_DEP_1) | instskip(NEXT) | instid1(VALU_DEP_1)
	v_lshrrev_b32_e32 v85, 27, v85
	v_add_nc_u32_e32 v87, v97, v85
	v_add3_u32 v85, v99, v98, v86
	s_delay_alu instid0(VALU_DEP_2)
	v_ashrrev_i32_e32 v86, 5, v87
.LBB4_720:                              ;   in Loop: Header=BB4_77 Depth=1
	s_or_b32 exec_lo, exec_lo, s40
	s_delay_alu instid0(SALU_CYCLE_1)
	s_and_b32 s21, s21, exec_lo
.LBB4_721:                              ;   in Loop: Header=BB4_77 Depth=1
	s_or_b32 exec_lo, exec_lo, s20
.LBB4_722:                              ;   in Loop: Header=BB4_77 Depth=1
	s_and_saveexec_b32 s16, s21
	s_cbranch_execz .LBB4_731
; %bb.723:                              ;   in Loop: Header=BB4_77 Depth=1
	s_delay_alu instid0(VALU_DEP_1) | instskip(SKIP_1) | instid1(VALU_DEP_1)
	v_ashrrev_i32_e32 v87, 31, v96
	s_mov_b32 s20, exec_lo
	v_lshrrev_b32_e32 v87, 24, v87
	s_delay_alu instid0(VALU_DEP_1) | instskip(NEXT) | instid1(VALU_DEP_1)
	v_add_nc_u32_e32 v87, v96, v87
	v_dual_ashrrev_i32 v100, 8, v87 :: v_dual_ashrrev_i32 v87, 31, v97
	s_delay_alu instid0(VALU_DEP_1) | instskip(NEXT) | instid1(VALU_DEP_1)
	v_dual_sub_nc_u32 v98, v100, v86 :: v_dual_lshrrev_b32 v99, 27, v87
	v_cmpx_lt_i32_e32 0, v98
	s_cbranch_execz .LBB4_727
; %bb.724:                              ;   in Loop: Header=BB4_77 Depth=1
	s_delay_alu instid0(VALU_DEP_2) | instskip(SKIP_1) | instid1(VALU_DEP_1)
	v_dual_add_nc_u32 v87, v97, v99 :: v_dual_lshlrev_b32 v86, 8, v86
	s_mov_b32 s21, 0
	v_and_b32_e32 v87, 0xffffffe0, v87
	s_delay_alu instid0(VALU_DEP_1) | instskip(NEXT) | instid1(VALU_DEP_1)
	v_sub_nc_u32_e32 v87, v97, v87
	v_add3_u32 v86, v85, v87, v86
	s_delay_alu instid0(VALU_DEP_1)
	v_ashrrev_i32_e32 v87, 31, v86
.LBB4_725:                              ;   Parent Loop BB4_77 Depth=1
                                        ; =>  This Inner Loop Header: Depth=2
	s_delay_alu instid0(VALU_DEP_1)
	v_add_nc_u64_e32 v[102:103], v[86:87], v[10:11]
	v_sub_nc_u32_e32 v98, v98, v36
	v_add_nc_u64_e32 v[10:11], v[10:11], v[54:55]
	s_clause 0x7
	flat_load_u8 v101, v[102:103] th:TH_LOAD_NT
	flat_load_u8 v112, v[102:103] offset:32 th:TH_LOAD_NT
	flat_load_u8 v113, v[102:103] offset:64 th:TH_LOAD_NT
	flat_load_u8 v43, v[102:103] offset:96 th:TH_LOAD_NT
	flat_load_u8 v44, v[102:103] offset:128 th:TH_LOAD_NT
	flat_load_u8 v45, v[102:103] offset:160 th:TH_LOAD_NT
	flat_load_u8 v46, v[102:103] offset:192 th:TH_LOAD_NT
	flat_load_u8 v47, v[102:103] offset:224 th:TH_LOAD_NT
	s_wait_xcnt 0x0
	v_add_nc_u64_e32 v[102:103], v[86:87], v[12:13]
	v_add_nc_u64_e32 v[12:13], v[12:13], v[54:55]
	v_cmp_gt_i32_e32 vcc_lo, 1, v98
	s_wait_loadcnt_dscnt 0x707
	flat_store_b8 v[102:103], v101 th:TH_STORE_NT
	s_wait_loadcnt_dscnt 0x607
	flat_store_b8 v[102:103], v112 offset:32 th:TH_STORE_NT
	s_wait_loadcnt_dscnt 0x507
	flat_store_b8 v[102:103], v113 offset:64 th:TH_STORE_NT
	;; [unrolled: 2-line block ×7, first 2 shown]
	s_or_b32 s21, vcc_lo, s21
	s_wait_xcnt 0x0
	s_and_not1_b32 exec_lo, exec_lo, s21
	s_cbranch_execnz .LBB4_725
; %bb.726:                              ;   in Loop: Header=BB4_77 Depth=1
	s_or_b32 exec_lo, exec_lo, s21
.LBB4_727:                              ;   in Loop: Header=BB4_77 Depth=1
	s_delay_alu instid0(SALU_CYCLE_1) | instskip(SKIP_1) | instid1(VALU_DEP_1)
	s_or_b32 exec_lo, exec_lo, s20
	v_lshlrev_b32_e32 v10, 8, v100
	v_cmp_ne_u32_e32 vcc_lo, v96, v10
	s_and_b32 exec_lo, exec_lo, vcc_lo
	s_cbranch_execz .LBB4_731
; %bb.728:                              ;   in Loop: Header=BB4_77 Depth=1
	v_dual_add_nc_u32 v11, v97, v99 :: v_dual_lshlrev_b32 v12, 5, v98
	s_delay_alu instid0(VALU_DEP_1) | instskip(NEXT) | instid1(VALU_DEP_1)
	v_and_b32_e32 v11, 0xffffffe0, v11
	v_sub_nc_u32_e32 v11, v97, v11
	s_delay_alu instid0(VALU_DEP_1) | instskip(NEXT) | instid1(VALU_DEP_1)
	v_sub_nc_u32_e32 v11, v11, v12
	v_add_nc_u32_e32 v12, v10, v11
	s_delay_alu instid0(VALU_DEP_1) | instskip(NEXT) | instid1(VALU_DEP_1)
	v_sub_nc_u32_e32 v86, v96, v12
	v_cmp_lt_i32_e32 vcc_lo, 0, v86
	s_and_b32 exec_lo, exec_lo, vcc_lo
	s_cbranch_execz .LBB4_731
; %bb.729:                              ;   in Loop: Header=BB4_77 Depth=1
	s_trap 2
	ds_load_b64 v[10:11], v0
	v_add_nc_u32_e32 v12, v12, v85
	s_mov_b32 s20, 0
	s_delay_alu instid0(VALU_DEP_1)
	v_ashrrev_i32_e32 v13, 31, v12
.LBB4_730:                              ;   Parent Loop BB4_77 Depth=1
                                        ; =>  This Inner Loop Header: Depth=2
	s_wait_dscnt 0x0
	s_delay_alu instid0(VALU_DEP_1) | instskip(SKIP_2) | instid1(VALU_DEP_2)
	v_add_nc_u64_e32 v[96:97], v[10:11], v[12:13]
	v_sub_nc_u32_e32 v86, v86, v1
	v_add_nc_u64_e32 v[12:13], v[12:13], v[70:71]
	v_cmp_gt_i32_e32 vcc_lo, 1, v86
	flat_load_u8 v85, v[96:97] th:TH_LOAD_NT
	s_or_b32 s20, vcc_lo, s20
	s_wait_loadcnt_dscnt 0x0
	flat_store_b8 v[96:97], v85 th:TH_STORE_NT
	s_wait_xcnt 0x0
	s_and_not1_b32 exec_lo, exec_lo, s20
	s_cbranch_execnz .LBB4_730
.LBB4_731:                              ;   in Loop: Header=BB4_77 Depth=1
	s_or_b32 exec_lo, exec_lo, s16
	v_cmp_lt_i32_e64 s16, 0, v34
	s_and_saveexec_b32 s20, s3
	s_cbranch_execnz .LBB4_737
.LBB4_732:                              ;   in Loop: Header=BB4_77 Depth=1
	s_or_b32 exec_lo, exec_lo, s20
	s_and_saveexec_b32 s20, s11
	s_delay_alu instid0(SALU_CYCLE_1)
	s_xor_b32 s20, exec_lo, s20
	s_cbranch_execz .LBB4_804
.LBB4_733:                              ;   in Loop: Header=BB4_77 Depth=1
	v_and_b32_e32 v10, 16, v114
	s_delay_alu instid0(VALU_DEP_1) | instskip(SKIP_1) | instid1(SALU_CYCLE_1)
	v_cmp_ne_u32_e32 vcc_lo, 0, v10
	s_and_b32 s21, vcc_lo, s16
	s_and_saveexec_b32 s16, s21
	s_cbranch_execz .LBB4_735
; %bb.734:                              ;   in Loop: Header=BB4_77 Depth=1
	global_wb scope:SCOPE_SYS
	s_wait_storecnt 0x0
	s_wait_loadcnt_dscnt 0x0
	global_inv scope:SCOPE_SYS
.LBB4_735:                              ;   in Loop: Header=BB4_77 Depth=1
	s_or_b32 exec_lo, exec_lo, s16
	s_and_not1_saveexec_b32 s16, s20
	s_cbranch_execz .LBB4_846
	s_branch .LBB4_805
.LBB4_736:                              ;   in Loop: Header=BB4_77 Depth=1
	s_mov_b32 s16, 0
	s_and_saveexec_b32 s20, s3
	s_cbranch_execz .LBB4_732
.LBB4_737:                              ;   in Loop: Header=BB4_77 Depth=1
	s_and_saveexec_b32 s21, s4
	s_delay_alu instid0(SALU_CYCLE_1)
	s_xor_b32 s21, exec_lo, s21
	s_cbranch_execz .LBB4_801
; %bb.738:                              ;   in Loop: Header=BB4_77 Depth=1
	s_and_saveexec_b32 s40, s7
	s_cbranch_execz .LBB4_800
; %bb.739:                              ;   in Loop: Header=BB4_77 Depth=1
	s_mov_b32 s43, exec_lo
	s_mov_b32 s42, exec_lo
	v_mbcnt_lo_u32_b32 v10, s43, 0
	global_wb scope:SCOPE_DEV
	s_wait_storecnt 0x0
	s_wait_loadcnt_dscnt 0x0
	global_inv scope:SCOPE_DEV
	v_cmpx_eq_u32_e32 0, v10
	s_cbranch_execz .LBB4_741
; %bb.740:                              ;   in Loop: Header=BB4_77 Depth=1
	s_bcnt1_i32_b32 s43, s43
	s_delay_alu instid0(SALU_CYCLE_1)
	v_mov_b32_e32 v34, s43
	s_wait_loadcnt 0x0
	ds_add_u64 v0, v[34:35]
	s_trap 2
.LBB4_741:                              ;   in Loop: Header=BB4_77 Depth=1
	s_or_b32 exec_lo, exec_lo, s42
	s_trap 2
	ds_load_b64 v[10:11], v0
	s_wait_dscnt 0x0
	v_add_nc_u64_e32 v[26:27], v[26:27], v[36:37]
	s_mov_b32 s42, exec_lo
	s_delay_alu instid0(VALU_DEP_1)
	v_cmpx_lt_u64_e64 v[10:11], v[26:27]
	s_cbranch_execz .LBB4_799
; %bb.742:                              ;   in Loop: Header=BB4_77 Depth=1
	s_mov_b32 s43, 0
	s_mov_b32 s46, 0
                                        ; implicit-def: $sgpr44
                                        ; implicit-def: $sgpr45
	s_branch .LBB4_744
.LBB4_743:                              ;   in Loop: Header=BB4_744 Depth=2
	s_or_b32 exec_lo, exec_lo, s56
	s_delay_alu instid0(SALU_CYCLE_1) | instskip(NEXT) | instid1(SALU_CYCLE_1)
	s_and_b32 s47, exec_lo, s57
	s_or_b32 s43, s47, s43
	s_and_not1_b32 s44, s44, exec_lo
	s_and_b32 s47, s45, exec_lo
	s_delay_alu instid0(SALU_CYCLE_1)
	s_or_b32 s44, s44, s47
	s_and_not1_b32 exec_lo, exec_lo, s43
	s_cbranch_execz .LBB4_797
.LBB4_744:                              ;   Parent Loop BB4_77 Depth=1
                                        ; =>  This Inner Loop Header: Depth=2
	s_add_co_i32 s46, s46, 1
	s_delay_alu instid0(SALU_CYCLE_1) | instskip(SKIP_1) | instid1(SALU_CYCLE_1)
	s_cmp_lg_u32 s46, 0x2710
	s_cselect_b32 s47, -1, 0
	s_and_b32 vcc_lo, exec_lo, s47
	s_cbranch_vccz .LBB4_746
; %bb.745:                              ;   in Loop: Header=BB4_744 Depth=2
	s_mov_b32 s57, -1
	s_or_b32 s45, s45, exec_lo
	s_and_saveexec_b32 s56, s47
	s_cbranch_execz .LBB4_743
	s_branch .LBB4_747
.LBB4_746:                              ;   in Loop: Header=BB4_744 Depth=2
	s_trap 2
	ds_load_b64 v[10:11], v0
	s_and_not1_b32 s47, s47, exec_lo
	s_mov_b32 s46, 0
	s_wait_loadcnt_dscnt 0x0
	flat_load_b32 v10, v[10:11] scope:SCOPE_SYS
	s_wait_loadcnt_dscnt 0x0
	global_inv scope:SCOPE_SYS
	v_cmp_eq_u32_e32 vcc_lo, 0, v10
	s_and_b32 s56, vcc_lo, exec_lo
	s_delay_alu instid0(SALU_CYCLE_1)
	s_or_b32 s47, s47, s56
	s_mov_b32 s57, -1
	s_or_b32 s45, s45, exec_lo
	s_and_saveexec_b32 s56, s47
	s_cbranch_execz .LBB4_743
.LBB4_747:                              ;   in Loop: Header=BB4_744 Depth=2
	s_sleep 1
	s_trap 2
	ds_load_b64 v[10:11], v0
	s_wait_dscnt 0x0
	s_and_not1_b32 s45, s45, exec_lo
	v_cmp_ge_u64_e32 vcc_lo, v[10:11], v[26:27]
	s_or_not1_b32 s57, vcc_lo, exec_lo
	s_branch .LBB4_743
.LBB4_748:                              ;   in Loop: Header=BB4_77 Depth=1
	s_or_b32 exec_lo, exec_lo, s43
	s_and_saveexec_b32 s43, s44
	s_delay_alu instid0(SALU_CYCLE_1)
	s_xor_b32 s43, exec_lo, s43
	s_cbranch_execz .LBB4_750
; %bb.749:                              ;   in Loop: Header=BB4_77 Depth=1
	ds_store_b32 v0, v116
	s_trap 2
.LBB4_750:                              ;   in Loop: Header=BB4_77 Depth=1
	s_or_b32 exec_lo, exec_lo, s42
	;;#ASMSTART
	s_wakeup
	;;#ASMEND
.LBB4_751:                              ;   in Loop: Header=BB4_77 Depth=1
	s_or_b32 exec_lo, exec_lo, s21
.LBB4_752:                              ;   in Loop: Header=BB4_77 Depth=1
	s_and_not1_saveexec_b32 s20, s20
	s_cbranch_execz .LBB4_754
; %bb.753:                              ;   in Loop: Header=BB4_77 Depth=1
	global_wb scope:SCOPE_DEV
	s_wait_storecnt 0x0
	s_wait_loadcnt_dscnt 0x0
	global_inv scope:SCOPE_DEV
	s_barrier_signal -1
	s_barrier_wait -1
.LBB4_754:                              ;   in Loop: Header=BB4_77 Depth=1
	s_or_b32 exec_lo, exec_lo, s20
.LBB4_755:                              ;   in Loop: Header=BB4_77 Depth=1
	s_delay_alu instid0(SALU_CYCLE_1)
	s_or_b32 exec_lo, exec_lo, s15
	s_trap 2
	ds_load_b64 v[10:11], v0
	s_wait_dscnt 0x0
	v_cmp_eq_u64_e32 vcc_lo, 0, v[10:11]
	s_cbranch_vccnz .LBB4_785
; %bb.756:                              ;   in Loop: Header=BB4_77 Depth=1
	s_trap 2
	ds_load_b64 v[12:13], v0
	s_wait_dscnt 0x0
	v_cmp_eq_u64_e32 vcc_lo, 0, v[12:13]
	s_cbranch_vccnz .LBB4_785
; %bb.757:                              ;   in Loop: Header=BB4_77 Depth=1
	s_mov_b32 s15, -1
	s_and_saveexec_b32 s20, s13
	s_cbranch_execz .LBB4_759
; %bb.758:                              ;   in Loop: Header=BB4_77 Depth=1
	ds_load_b32 v34, v0 offset:720
	s_wait_dscnt 0x0
	v_and_b32_e32 v34, 15, v34
	s_delay_alu instid0(VALU_DEP_1)
	v_cmp_eq_u32_e32 vcc_lo, 0, v34
	s_or_not1_b32 s15, vcc_lo, exec_lo
.LBB4_759:                              ;   in Loop: Header=BB4_77 Depth=1
	s_or_b32 exec_lo, exec_lo, s20
	s_and_saveexec_b32 s20, s10
	s_cbranch_execz .LBB4_761
; %bb.760:                              ;   in Loop: Header=BB4_77 Depth=1
	ds_load_b32 v34, v0 offset:784
	s_wait_dscnt 0x0
	v_and_b32_e32 v34, 15, v34
	s_delay_alu instid0(VALU_DEP_1) | instskip(SKIP_3) | instid1(SALU_CYCLE_1)
	v_cmp_eq_u32_e32 vcc_lo, 0, v34
	s_and_b32 s21, s15, vcc_lo
	s_and_not1_b32 s15, s15, exec_lo
	s_and_b32 s21, s21, exec_lo
	s_or_b32 s15, s15, s21
.LBB4_761:                              ;   in Loop: Header=BB4_77 Depth=1
	s_or_b32 exec_lo, exec_lo, s20
	v_cmp_eq_u32_e32 vcc_lo, 0, v85
	s_xor_b32 s15, s15, -1
	s_mov_b32 s21, -1
	v_cndmask_b32_e64 v86, 0, 1, s15
	v_dual_mov_b32 v85, 0 :: v_dual_cndmask_b32 v34, 0, v84
	v_mov_b32_e32 v97, v0
	s_delay_alu instid0(VALU_DEP_3) | instskip(NEXT) | instid1(VALU_DEP_3)
	v_cmp_ne_u32_e32 vcc_lo, 0, v86
	v_dual_mov_b32 v86, v119 :: v_dual_mov_b32 v96, v34
	s_cbranch_vccnz .LBB4_775
; %bb.762:                              ;   in Loop: Header=BB4_77 Depth=1
	v_ashrrev_i32_e32 v85, 31, v34
	s_mov_b32 s15, exec_lo
	s_delay_alu instid0(VALU_DEP_1) | instskip(NEXT) | instid1(VALU_DEP_1)
	v_lshrrev_b32_e32 v85, 22, v85
	v_add_nc_u32_e32 v85, v34, v85
	s_delay_alu instid0(VALU_DEP_1) | instskip(NEXT) | instid1(VALU_DEP_1)
	v_ashrrev_i32_e32 v85, 10, v85
	v_sub_nc_u32_e32 v99, v85, v119
	s_delay_alu instid0(VALU_DEP_1)
	v_cmpx_lt_i32_e32 0, v99
	s_cbranch_execz .LBB4_766
; %bb.763:                              ;   in Loop: Header=BB4_77 Depth=1
	v_mov_b64_e32 v[86:87], v[82:83]
	s_mov_b32 s20, 0
.LBB4_764:                              ;   Parent Loop BB4_77 Depth=1
                                        ; =>  This Inner Loop Header: Depth=2
	s_delay_alu instid0(VALU_DEP_1)
	v_add_nc_u64_e32 v[96:97], v[10:11], v[86:87]
	v_sub_nc_u32_e32 v99, v99, v36
	s_clause 0x1
	global_load_b128 v[100:103], v[96:97], off th:TH_LOAD_NT
	global_load_b128 v[44:47], v[96:97], off offset:512 th:TH_LOAD_NT
	s_wait_xcnt 0x0
	v_add_nc_u64_e32 v[96:97], v[12:13], v[86:87]
	v_cmp_gt_i32_e32 vcc_lo, 1, v99
	v_add_nc_u64_e32 v[86:87], v[86:87], v[66:67]
	s_wait_loadcnt 0x1
	global_store_b128 v[96:97], v[100:103], off th:TH_STORE_NT
	s_wait_loadcnt 0x0
	global_store_b128 v[96:97], v[44:47], off offset:512 th:TH_STORE_NT
	s_or_b32 s20, vcc_lo, s20
	s_wait_xcnt 0x0
	s_and_not1_b32 exec_lo, exec_lo, s20
	s_cbranch_execnz .LBB4_764
; %bb.765:                              ;   in Loop: Header=BB4_77 Depth=1
	s_or_b32 exec_lo, exec_lo, s20
.LBB4_766:                              ;   in Loop: Header=BB4_77 Depth=1
	s_delay_alu instid0(SALU_CYCLE_1) | instskip(SKIP_3) | instid1(VALU_DEP_1)
	s_or_b32 exec_lo, exec_lo, s15
	v_dual_mov_b32 v85, 0 :: v_dual_lshlrev_b32 v98, 10, v85
	s_mov_b32 s21, 0
	s_mov_b32 s20, exec_lo
                                        ; implicit-def: $vgpr96
                                        ; implicit-def: $vgpr97
                                        ; implicit-def: $vgpr86
	v_cmpx_ne_u32_e64 v34, v98
	s_cbranch_execz .LBB4_774
; %bb.767:                              ;   in Loop: Header=BB4_77 Depth=1
	v_dual_lshlrev_b32 v85, 5, v99 :: v_dual_sub_nc_u32 v87, v34, v98
	s_mov_b32 s21, exec_lo
	s_delay_alu instid0(VALU_DEP_1) | instskip(NEXT) | instid1(VALU_DEP_1)
	v_dual_sub_nc_u32 v85, v40, v85 :: v_dual_ashrrev_i32 v96, 31, v87
	v_dual_ashrrev_i32 v86, 31, v85 :: v_dual_lshrrev_b32 v96, 23, v96
	s_delay_alu instid0(VALU_DEP_1) | instskip(NEXT) | instid1(VALU_DEP_1)
	v_lshrrev_b32_e32 v86, 27, v86
	v_add_nc_u32_e32 v86, v85, v86
	s_delay_alu instid0(VALU_DEP_1) | instskip(NEXT) | instid1(VALU_DEP_1)
	v_and_b32_e32 v97, 0xffffffe0, v86
	v_dual_add_nc_u32 v96, v87, v96 :: v_dual_sub_nc_u32 v100, v85, v97
	s_delay_alu instid0(VALU_DEP_1) | instskip(SKIP_1) | instid1(VALU_DEP_2)
	v_and_b32_e32 v99, 0xfffffe00, v96
	v_dual_ashrrev_i32 v97, 5, v86 :: v_dual_ashrrev_i32 v96, 9, v96
	v_dual_lshlrev_b32 v85, 4, v100 :: v_dual_sub_nc_u32 v101, v87, v99
	s_delay_alu instid0(VALU_DEP_1) | instskip(NEXT) | instid1(VALU_DEP_2)
	v_lshl_add_u32 v86, v97, 9, v85
	v_cmp_lt_i32_e32 vcc_lo, 15, v101
	s_delay_alu instid0(VALU_DEP_4) | instskip(NEXT) | instid1(VALU_DEP_1)
	v_add_co_ci_u32_e64 v96, null, 0, v96, vcc_lo
	v_dual_sub_nc_u32 v85, v87, v86 :: v_dual_sub_nc_u32 v102, v96, v97
	s_delay_alu instid0(VALU_DEP_1)
	v_cmpx_lt_i32_e32 15, v85
	s_cbranch_execz .LBB4_771
; %bb.768:                              ;   in Loop: Header=BB4_77 Depth=1
	v_add_nc_u32_e32 v86, v86, v98
	s_mov_b32 s42, 0
	s_delay_alu instid0(VALU_DEP_1)
	v_ashrrev_i32_e32 v87, 31, v86
.LBB4_769:                              ;   Parent Loop BB4_77 Depth=1
                                        ; =>  This Inner Loop Header: Depth=2
	s_delay_alu instid0(VALU_DEP_1) | instskip(SKIP_1) | instid1(VALU_DEP_1)
	v_add_nc_u64_e32 v[96:97], v[10:11], v[86:87]
	v_dual_sub_nc_u32 v85, v85, v118 :: v_dual_sub_nc_u32 v102, v102, v36
	v_cmp_gt_i32_e64 s15, 16, v85
	global_load_b128 v[44:47], v[96:97], off th:TH_LOAD_NT
	s_wait_xcnt 0x0
	v_add_nc_u64_e32 v[96:97], v[12:13], v[86:87]
	v_add_nc_u64_e32 v[86:87], v[86:87], v[80:81]
	s_or_b32 s42, s15, s42
	s_wait_loadcnt 0x0
	global_store_b128 v[96:97], v[44:47], off th:TH_STORE_NT
	s_wait_xcnt 0x0
	s_and_not1_b32 exec_lo, exec_lo, s42
	s_cbranch_execnz .LBB4_769
; %bb.770:                              ;   in Loop: Header=BB4_77 Depth=1
	s_or_b32 exec_lo, exec_lo, s42
.LBB4_771:                              ;   in Loop: Header=BB4_77 Depth=1
	s_delay_alu instid0(SALU_CYCLE_1) | instskip(SKIP_3) | instid1(VALU_DEP_1)
	s_or_b32 exec_lo, exec_lo, s21
	v_dual_mov_b32 v85, 0 :: v_dual_bitop2_b32 v87, 15, v34 bitop3:0x40
	s_mov_b32 s21, 0
	s_mov_b32 s42, exec_lo
                                        ; implicit-def: $vgpr97
                                        ; implicit-def: $vgpr86
	v_cndmask_b32_e32 v96, v101, v87, vcc_lo
	s_delay_alu instid0(VALU_DEP_1)
	v_cmpx_ne_u32_e32 0, v96
	s_cbranch_execz .LBB4_773
; %bb.772:                              ;   in Loop: Header=BB4_77 Depth=1
	v_cmp_lt_i32_e64 s15, 0, v102
	s_mov_b32 s21, exec_lo
	v_dual_sub_nc_u32 v86, v101, v87 :: v_dual_cndmask_b32 v85, 0, v36, s15
	s_delay_alu instid0(VALU_DEP_1) | instskip(NEXT) | instid1(VALU_DEP_2)
	v_cndmask_b32_e32 v86, 0, v86, vcc_lo
	v_sub_nc_u32_e32 v85, v85, v102
	s_delay_alu instid0(VALU_DEP_1) | instskip(NEXT) | instid1(VALU_DEP_1)
	v_lshl_add_u32 v97, v85, 5, v100
	v_ashrrev_i32_e32 v85, 31, v97
	s_delay_alu instid0(VALU_DEP_1) | instskip(NEXT) | instid1(VALU_DEP_1)
	v_lshrrev_b32_e32 v85, 27, v85
	v_add_nc_u32_e32 v87, v97, v85
	v_add3_u32 v85, v99, v98, v86
	s_delay_alu instid0(VALU_DEP_2)
	v_ashrrev_i32_e32 v86, 5, v87
.LBB4_773:                              ;   in Loop: Header=BB4_77 Depth=1
	s_or_b32 exec_lo, exec_lo, s42
	s_delay_alu instid0(SALU_CYCLE_1)
	s_and_b32 s21, s21, exec_lo
.LBB4_774:                              ;   in Loop: Header=BB4_77 Depth=1
	s_or_b32 exec_lo, exec_lo, s20
.LBB4_775:                              ;   in Loop: Header=BB4_77 Depth=1
	s_and_saveexec_b32 s15, s21
	s_cbranch_execz .LBB4_784
; %bb.776:                              ;   in Loop: Header=BB4_77 Depth=1
	s_delay_alu instid0(VALU_DEP_1) | instskip(SKIP_1) | instid1(VALU_DEP_1)
	v_ashrrev_i32_e32 v87, 31, v96
	s_mov_b32 s20, exec_lo
	v_lshrrev_b32_e32 v87, 24, v87
	s_delay_alu instid0(VALU_DEP_1) | instskip(NEXT) | instid1(VALU_DEP_1)
	v_add_nc_u32_e32 v87, v96, v87
	v_dual_ashrrev_i32 v100, 8, v87 :: v_dual_ashrrev_i32 v87, 31, v97
	s_delay_alu instid0(VALU_DEP_1) | instskip(NEXT) | instid1(VALU_DEP_1)
	v_dual_sub_nc_u32 v98, v100, v86 :: v_dual_lshrrev_b32 v99, 27, v87
	v_cmpx_lt_i32_e32 0, v98
	s_cbranch_execz .LBB4_780
; %bb.777:                              ;   in Loop: Header=BB4_77 Depth=1
	s_delay_alu instid0(VALU_DEP_2) | instskip(SKIP_1) | instid1(VALU_DEP_1)
	v_dual_add_nc_u32 v87, v97, v99 :: v_dual_lshlrev_b32 v86, 8, v86
	s_mov_b32 s21, 0
	v_and_b32_e32 v87, 0xffffffe0, v87
	s_delay_alu instid0(VALU_DEP_1) | instskip(NEXT) | instid1(VALU_DEP_1)
	v_sub_nc_u32_e32 v87, v97, v87
	v_add3_u32 v86, v85, v87, v86
	s_delay_alu instid0(VALU_DEP_1)
	v_ashrrev_i32_e32 v87, 31, v86
.LBB4_778:                              ;   Parent Loop BB4_77 Depth=1
                                        ; =>  This Inner Loop Header: Depth=2
	s_delay_alu instid0(VALU_DEP_1)
	v_add_nc_u64_e32 v[102:103], v[86:87], v[10:11]
	v_sub_nc_u32_e32 v98, v98, v36
	v_add_nc_u64_e32 v[10:11], v[10:11], v[54:55]
	s_clause 0x7
	flat_load_u8 v101, v[102:103] th:TH_LOAD_NT
	flat_load_u8 v112, v[102:103] offset:32 th:TH_LOAD_NT
	flat_load_u8 v113, v[102:103] offset:64 th:TH_LOAD_NT
	;; [unrolled: 1-line block ×7, first 2 shown]
	s_wait_xcnt 0x0
	v_add_nc_u64_e32 v[102:103], v[86:87], v[12:13]
	v_add_nc_u64_e32 v[12:13], v[12:13], v[54:55]
	v_cmp_gt_i32_e32 vcc_lo, 1, v98
	s_wait_loadcnt_dscnt 0x707
	flat_store_b8 v[102:103], v101 th:TH_STORE_NT
	s_wait_loadcnt_dscnt 0x607
	flat_store_b8 v[102:103], v112 offset:32 th:TH_STORE_NT
	s_wait_loadcnt_dscnt 0x507
	flat_store_b8 v[102:103], v113 offset:64 th:TH_STORE_NT
	;; [unrolled: 2-line block ×7, first 2 shown]
	s_or_b32 s21, vcc_lo, s21
	s_wait_xcnt 0x0
	s_and_not1_b32 exec_lo, exec_lo, s21
	s_cbranch_execnz .LBB4_778
; %bb.779:                              ;   in Loop: Header=BB4_77 Depth=1
	s_or_b32 exec_lo, exec_lo, s21
.LBB4_780:                              ;   in Loop: Header=BB4_77 Depth=1
	s_delay_alu instid0(SALU_CYCLE_1) | instskip(SKIP_1) | instid1(VALU_DEP_1)
	s_or_b32 exec_lo, exec_lo, s20
	v_lshlrev_b32_e32 v10, 8, v100
	v_cmp_ne_u32_e32 vcc_lo, v96, v10
	s_and_b32 exec_lo, exec_lo, vcc_lo
	s_cbranch_execz .LBB4_784
; %bb.781:                              ;   in Loop: Header=BB4_77 Depth=1
	v_dual_add_nc_u32 v11, v97, v99 :: v_dual_lshlrev_b32 v12, 5, v98
	s_delay_alu instid0(VALU_DEP_1) | instskip(NEXT) | instid1(VALU_DEP_1)
	v_and_b32_e32 v11, 0xffffffe0, v11
	v_sub_nc_u32_e32 v11, v97, v11
	s_delay_alu instid0(VALU_DEP_1) | instskip(NEXT) | instid1(VALU_DEP_1)
	v_sub_nc_u32_e32 v11, v11, v12
	v_add_nc_u32_e32 v12, v10, v11
	s_delay_alu instid0(VALU_DEP_1) | instskip(NEXT) | instid1(VALU_DEP_1)
	v_sub_nc_u32_e32 v86, v96, v12
	v_cmp_lt_i32_e32 vcc_lo, 0, v86
	s_and_b32 exec_lo, exec_lo, vcc_lo
	s_cbranch_execz .LBB4_784
; %bb.782:                              ;   in Loop: Header=BB4_77 Depth=1
	s_trap 2
	ds_load_b64 v[10:11], v0
	v_add_nc_u32_e32 v12, v12, v85
	s_mov_b32 s20, 0
	s_delay_alu instid0(VALU_DEP_1)
	v_ashrrev_i32_e32 v13, 31, v12
.LBB4_783:                              ;   Parent Loop BB4_77 Depth=1
                                        ; =>  This Inner Loop Header: Depth=2
	s_wait_dscnt 0x0
	s_delay_alu instid0(VALU_DEP_1) | instskip(SKIP_2) | instid1(VALU_DEP_2)
	v_add_nc_u64_e32 v[96:97], v[10:11], v[12:13]
	v_sub_nc_u32_e32 v86, v86, v1
	v_add_nc_u64_e32 v[12:13], v[12:13], v[70:71]
	v_cmp_gt_i32_e32 vcc_lo, 1, v86
	flat_load_u8 v85, v[96:97] th:TH_LOAD_NT
	s_or_b32 s20, vcc_lo, s20
	s_wait_loadcnt_dscnt 0x0
	flat_store_b8 v[96:97], v85 th:TH_STORE_NT
	s_wait_xcnt 0x0
	s_and_not1_b32 exec_lo, exec_lo, s20
	s_cbranch_execnz .LBB4_783
.LBB4_784:                              ;   in Loop: Header=BB4_77 Depth=1
	s_or_b32 exec_lo, exec_lo, s15
	v_cmp_lt_i32_e64 s15, 0, v34
	s_and_saveexec_b32 s20, s3
	s_cbranch_execnz .LBB4_786
	s_branch .LBB4_823
.LBB4_785:                              ;   in Loop: Header=BB4_77 Depth=1
	s_mov_b32 s15, 0
	s_and_saveexec_b32 s20, s3
	s_cbranch_execz .LBB4_823
.LBB4_786:                              ;   in Loop: Header=BB4_77 Depth=1
	s_and_saveexec_b32 s21, s4
	s_delay_alu instid0(SALU_CYCLE_1)
	s_xor_b32 s21, exec_lo, s21
	s_cbranch_execz .LBB4_820
; %bb.787:                              ;   in Loop: Header=BB4_77 Depth=1
	s_and_saveexec_b32 s42, s7
	s_cbranch_execz .LBB4_819
; %bb.788:                              ;   in Loop: Header=BB4_77 Depth=1
	s_mov_b32 s44, exec_lo
	s_mov_b32 s43, exec_lo
	v_mbcnt_lo_u32_b32 v10, s44, 0
	global_wb scope:SCOPE_DEV
	s_wait_storecnt 0x0
	s_wait_loadcnt_dscnt 0x0
	global_inv scope:SCOPE_DEV
	v_cmpx_eq_u32_e32 0, v10
	s_cbranch_execz .LBB4_790
; %bb.789:                              ;   in Loop: Header=BB4_77 Depth=1
	s_bcnt1_i32_b32 s44, s44
	s_delay_alu instid0(SALU_CYCLE_1)
	v_mov_b32_e32 v34, s44
	s_wait_loadcnt 0x0
	ds_add_u64 v0, v[34:35]
	s_trap 2
.LBB4_790:                              ;   in Loop: Header=BB4_77 Depth=1
	s_or_b32 exec_lo, exec_lo, s43
	s_trap 2
	ds_load_b64 v[10:11], v0
	s_wait_dscnt 0x0
	v_add_nc_u64_e32 v[26:27], v[26:27], v[36:37]
	s_mov_b32 s43, exec_lo
	s_delay_alu instid0(VALU_DEP_1)
	v_cmpx_lt_u64_e64 v[10:11], v[26:27]
	s_cbranch_execz .LBB4_818
; %bb.791:                              ;   in Loop: Header=BB4_77 Depth=1
	s_mov_b32 s44, 0
	s_mov_b32 s47, 0
                                        ; implicit-def: $sgpr45
                                        ; implicit-def: $sgpr46
	s_branch .LBB4_793
.LBB4_792:                              ;   in Loop: Header=BB4_793 Depth=2
	s_or_b32 exec_lo, exec_lo, s57
	s_delay_alu instid0(SALU_CYCLE_1) | instskip(NEXT) | instid1(SALU_CYCLE_1)
	s_and_b32 s56, exec_lo, s58
	s_or_b32 s44, s56, s44
	s_and_not1_b32 s45, s45, exec_lo
	s_and_b32 s56, s46, exec_lo
	s_delay_alu instid0(SALU_CYCLE_1)
	s_or_b32 s45, s45, s56
	s_and_not1_b32 exec_lo, exec_lo, s44
	s_cbranch_execz .LBB4_816
.LBB4_793:                              ;   Parent Loop BB4_77 Depth=1
                                        ; =>  This Inner Loop Header: Depth=2
	s_add_co_i32 s47, s47, 1
	s_delay_alu instid0(SALU_CYCLE_1) | instskip(SKIP_1) | instid1(SALU_CYCLE_1)
	s_cmp_lg_u32 s47, 0x2710
	s_cselect_b32 s56, -1, 0
	s_and_b32 vcc_lo, exec_lo, s56
	s_cbranch_vccz .LBB4_795
; %bb.794:                              ;   in Loop: Header=BB4_793 Depth=2
	s_mov_b32 s58, -1
	s_or_b32 s46, s46, exec_lo
	s_and_saveexec_b32 s57, s56
	s_cbranch_execz .LBB4_792
	s_branch .LBB4_796
.LBB4_795:                              ;   in Loop: Header=BB4_793 Depth=2
	s_trap 2
	ds_load_b64 v[10:11], v0
	s_and_not1_b32 s56, s56, exec_lo
	s_mov_b32 s47, 0
	s_wait_loadcnt_dscnt 0x0
	flat_load_b32 v10, v[10:11] scope:SCOPE_SYS
	s_wait_loadcnt_dscnt 0x0
	global_inv scope:SCOPE_SYS
	v_cmp_eq_u32_e32 vcc_lo, 0, v10
	s_and_b32 s57, vcc_lo, exec_lo
	s_delay_alu instid0(SALU_CYCLE_1)
	s_or_b32 s56, s56, s57
	s_mov_b32 s58, -1
	s_or_b32 s46, s46, exec_lo
	s_and_saveexec_b32 s57, s56
	s_cbranch_execz .LBB4_792
.LBB4_796:                              ;   in Loop: Header=BB4_793 Depth=2
	s_sleep 1
	s_trap 2
	ds_load_b64 v[10:11], v0
	s_wait_dscnt 0x0
	s_and_not1_b32 s46, s46, exec_lo
	v_cmp_ge_u64_e32 vcc_lo, v[10:11], v[26:27]
	s_or_not1_b32 s58, vcc_lo, exec_lo
	s_branch .LBB4_792
.LBB4_797:                              ;   in Loop: Header=BB4_77 Depth=1
	s_or_b32 exec_lo, exec_lo, s43
	s_and_saveexec_b32 s43, s44
	s_delay_alu instid0(SALU_CYCLE_1)
	s_xor_b32 s43, exec_lo, s43
	s_cbranch_execz .LBB4_799
; %bb.798:                              ;   in Loop: Header=BB4_77 Depth=1
	ds_store_b32 v0, v116
	s_trap 2
.LBB4_799:                              ;   in Loop: Header=BB4_77 Depth=1
	s_or_b32 exec_lo, exec_lo, s42
	;;#ASMSTART
	s_wakeup
	;;#ASMEND
.LBB4_800:                              ;   in Loop: Header=BB4_77 Depth=1
	s_or_b32 exec_lo, exec_lo, s40
.LBB4_801:                              ;   in Loop: Header=BB4_77 Depth=1
	s_and_not1_saveexec_b32 s21, s21
	s_cbranch_execz .LBB4_803
; %bb.802:                              ;   in Loop: Header=BB4_77 Depth=1
	global_wb scope:SCOPE_DEV
	s_wait_storecnt 0x0
	s_wait_loadcnt_dscnt 0x0
	global_inv scope:SCOPE_DEV
	s_barrier_signal -1
	s_barrier_wait -1
.LBB4_803:                              ;   in Loop: Header=BB4_77 Depth=1
	s_or_b32 exec_lo, exec_lo, s21
	s_delay_alu instid0(SALU_CYCLE_1) | instskip(SKIP_1) | instid1(SALU_CYCLE_1)
	s_or_b32 exec_lo, exec_lo, s20
	s_and_saveexec_b32 s20, s11
	s_xor_b32 s20, exec_lo, s20
	s_cbranch_execnz .LBB4_733
.LBB4_804:                              ;   in Loop: Header=BB4_77 Depth=1
	s_and_not1_saveexec_b32 s16, s20
	s_cbranch_execz .LBB4_846
.LBB4_805:                              ;   in Loop: Header=BB4_77 Depth=1
	s_and_saveexec_b32 s20, s4
	s_delay_alu instid0(SALU_CYCLE_1)
	s_xor_b32 s20, exec_lo, s20
	s_cbranch_execz .LBB4_843
; %bb.806:                              ;   in Loop: Header=BB4_77 Depth=1
	s_and_saveexec_b32 s21, s7
	s_cbranch_execz .LBB4_842
; %bb.807:                              ;   in Loop: Header=BB4_77 Depth=1
	s_mov_b32 s42, exec_lo
	s_mov_b32 s40, exec_lo
	v_mbcnt_lo_u32_b32 v10, s42, 0
	;;#ASMSTART
	s_waitcnt lgkmcnt(0) vmcnt(0)
	;;#ASMEND
	s_delay_alu instid0(VALU_DEP_1)
	v_cmpx_eq_u32_e32 0, v10
	s_cbranch_execz .LBB4_809
; %bb.808:                              ;   in Loop: Header=BB4_77 Depth=1
	s_bcnt1_i32_b32 s42, s42
	s_delay_alu instid0(SALU_CYCLE_1)
	v_mov_b32_e32 v34, s42
	s_wait_storecnt 0x0
	s_wait_loadcnt_dscnt 0x0
	ds_add_u64 v0, v[34:35]
	s_trap 2
.LBB4_809:                              ;   in Loop: Header=BB4_77 Depth=1
	s_or_b32 exec_lo, exec_lo, s40
	s_trap 2
	ds_load_b64 v[10:11], v0
	s_wait_dscnt 0x0
	v_add_nc_u64_e32 v[26:27], v[26:27], v[36:37]
	s_mov_b32 s40, exec_lo
	s_delay_alu instid0(VALU_DEP_1)
	v_cmpx_lt_u64_e64 v[10:11], v[26:27]
	s_cbranch_execz .LBB4_841
; %bb.810:                              ;   in Loop: Header=BB4_77 Depth=1
	s_mov_b32 s42, 0
	s_mov_b32 s45, 0
                                        ; implicit-def: $sgpr43
                                        ; implicit-def: $sgpr44
	s_branch .LBB4_812
.LBB4_811:                              ;   in Loop: Header=BB4_812 Depth=2
	s_or_b32 exec_lo, exec_lo, s47
	s_delay_alu instid0(SALU_CYCLE_1) | instskip(NEXT) | instid1(SALU_CYCLE_1)
	s_and_b32 s46, exec_lo, s56
	s_or_b32 s42, s46, s42
	s_and_not1_b32 s43, s43, exec_lo
	s_and_b32 s46, s44, exec_lo
	s_delay_alu instid0(SALU_CYCLE_1)
	s_or_b32 s43, s43, s46
	s_and_not1_b32 exec_lo, exec_lo, s42
	s_cbranch_execz .LBB4_839
.LBB4_812:                              ;   Parent Loop BB4_77 Depth=1
                                        ; =>  This Inner Loop Header: Depth=2
	s_add_co_i32 s45, s45, 1
	s_delay_alu instid0(SALU_CYCLE_1) | instskip(SKIP_1) | instid1(SALU_CYCLE_1)
	s_cmp_lg_u32 s45, 0x2710
	s_cselect_b32 s46, -1, 0
	s_and_b32 vcc_lo, exec_lo, s46
	s_cbranch_vccz .LBB4_814
; %bb.813:                              ;   in Loop: Header=BB4_812 Depth=2
	s_mov_b32 s56, -1
	s_or_b32 s44, s44, exec_lo
	s_and_saveexec_b32 s47, s46
	s_cbranch_execz .LBB4_811
	s_branch .LBB4_815
.LBB4_814:                              ;   in Loop: Header=BB4_812 Depth=2
	s_trap 2
	ds_load_b64 v[10:11], v0
	s_and_not1_b32 s46, s46, exec_lo
	s_mov_b32 s45, 0
	s_wait_storecnt 0x0
	s_wait_loadcnt_dscnt 0x0
	flat_load_b32 v10, v[10:11] scope:SCOPE_SYS
	s_wait_loadcnt_dscnt 0x0
	global_inv scope:SCOPE_SYS
	v_cmp_eq_u32_e32 vcc_lo, 0, v10
	s_and_b32 s47, vcc_lo, exec_lo
	s_delay_alu instid0(SALU_CYCLE_1)
	s_or_b32 s46, s46, s47
	s_mov_b32 s56, -1
	s_or_b32 s44, s44, exec_lo
	s_and_saveexec_b32 s47, s46
	s_cbranch_execz .LBB4_811
.LBB4_815:                              ;   in Loop: Header=BB4_812 Depth=2
	s_sleep 1
	s_trap 2
	ds_load_b64 v[10:11], v0
	s_wait_dscnt 0x0
	s_and_not1_b32 s44, s44, exec_lo
	v_cmp_ge_u64_e32 vcc_lo, v[10:11], v[26:27]
	s_or_not1_b32 s56, vcc_lo, exec_lo
	s_branch .LBB4_811
.LBB4_816:                              ;   in Loop: Header=BB4_77 Depth=1
	s_or_b32 exec_lo, exec_lo, s44
	s_and_saveexec_b32 s44, s45
	s_delay_alu instid0(SALU_CYCLE_1)
	s_xor_b32 s44, exec_lo, s44
	s_cbranch_execz .LBB4_818
; %bb.817:                              ;   in Loop: Header=BB4_77 Depth=1
	ds_store_b32 v0, v116
	s_trap 2
.LBB4_818:                              ;   in Loop: Header=BB4_77 Depth=1
	s_or_b32 exec_lo, exec_lo, s43
	;;#ASMSTART
	s_wakeup
	;;#ASMEND
.LBB4_819:                              ;   in Loop: Header=BB4_77 Depth=1
	s_or_b32 exec_lo, exec_lo, s42
.LBB4_820:                              ;   in Loop: Header=BB4_77 Depth=1
	s_and_not1_saveexec_b32 s21, s21
	s_cbranch_execz .LBB4_822
; %bb.821:                              ;   in Loop: Header=BB4_77 Depth=1
	global_wb scope:SCOPE_DEV
	s_wait_storecnt 0x0
	s_wait_loadcnt_dscnt 0x0
	global_inv scope:SCOPE_DEV
	s_barrier_signal -1
	s_barrier_wait -1
.LBB4_822:                              ;   in Loop: Header=BB4_77 Depth=1
	s_or_b32 exec_lo, exec_lo, s21
.LBB4_823:                              ;   in Loop: Header=BB4_77 Depth=1
	s_delay_alu instid0(SALU_CYCLE_1) | instskip(SKIP_2) | instid1(SALU_CYCLE_1)
	s_or_b32 exec_lo, exec_lo, s20
	v_and_b32_e32 v10, 16, v114
	s_and_saveexec_b32 s20, s11
	s_xor_b32 s20, exec_lo, s20
	s_cbranch_execz .LBB4_827
; %bb.824:                              ;   in Loop: Header=BB4_77 Depth=1
	v_and_b32_e32 v10, 16, v114
	s_delay_alu instid0(VALU_DEP_1) | instskip(SKIP_2) | instid1(SALU_CYCLE_1)
	v_cmp_ne_u32_e32 vcc_lo, 0, v10
	v_and_b32_e32 v10, 16, v114
	s_and_b32 s21, vcc_lo, s15
	s_and_saveexec_b32 s15, s21
	s_cbranch_execz .LBB4_826
; %bb.825:                              ;   in Loop: Header=BB4_77 Depth=1
	v_mov_b32_e32 v10, 1
	global_wb scope:SCOPE_SYS
	s_wait_storecnt 0x0
	s_wait_loadcnt_dscnt 0x0
	global_inv scope:SCOPE_SYS
.LBB4_826:                              ;   in Loop: Header=BB4_77 Depth=1
	s_or_b32 exec_lo, exec_lo, s15
.LBB4_827:                              ;   in Loop: Header=BB4_77 Depth=1
	s_and_not1_saveexec_b32 s15, s20
	s_cbranch_execz .LBB4_895
; %bb.828:                              ;   in Loop: Header=BB4_77 Depth=1
	s_and_saveexec_b32 s20, s4
	s_delay_alu instid0(SALU_CYCLE_1)
	s_xor_b32 s20, exec_lo, s20
	s_cbranch_execz .LBB4_892
; %bb.829:                              ;   in Loop: Header=BB4_77 Depth=1
	s_and_saveexec_b32 s21, s7
	s_cbranch_execz .LBB4_891
; %bb.830:                              ;   in Loop: Header=BB4_77 Depth=1
	s_mov_b32 s43, exec_lo
	s_mov_b32 s42, exec_lo
	v_mbcnt_lo_u32_b32 v11, s43, 0
	;;#ASMSTART
	s_waitcnt lgkmcnt(0) vmcnt(0)
	;;#ASMEND
	s_delay_alu instid0(VALU_DEP_1)
	v_cmpx_eq_u32_e32 0, v11
	s_cbranch_execz .LBB4_832
; %bb.831:                              ;   in Loop: Header=BB4_77 Depth=1
	s_bcnt1_i32_b32 s43, s43
	s_delay_alu instid0(SALU_CYCLE_1)
	v_mov_b32_e32 v34, s43
	s_wait_storecnt 0x0
	s_wait_loadcnt_dscnt 0x0
	ds_add_u64 v0, v[34:35]
	s_trap 2
.LBB4_832:                              ;   in Loop: Header=BB4_77 Depth=1
	s_or_b32 exec_lo, exec_lo, s42
	s_trap 2
	ds_load_b64 v[12:13], v0
	s_wait_dscnt 0x0
	v_add_nc_u64_e32 v[26:27], v[26:27], v[36:37]
	s_mov_b32 s42, exec_lo
	s_delay_alu instid0(VALU_DEP_1)
	v_cmpx_lt_u64_e64 v[12:13], v[26:27]
	s_cbranch_execz .LBB4_890
; %bb.833:                              ;   in Loop: Header=BB4_77 Depth=1
	s_mov_b32 s43, 0
	s_mov_b32 s46, 0
                                        ; implicit-def: $sgpr44
                                        ; implicit-def: $sgpr45
	s_branch .LBB4_835
.LBB4_834:                              ;   in Loop: Header=BB4_835 Depth=2
	s_or_b32 exec_lo, exec_lo, s56
	s_delay_alu instid0(SALU_CYCLE_1) | instskip(NEXT) | instid1(SALU_CYCLE_1)
	s_and_b32 s47, exec_lo, s57
	s_or_b32 s43, s47, s43
	s_and_not1_b32 s44, s44, exec_lo
	s_and_b32 s47, s45, exec_lo
	s_delay_alu instid0(SALU_CYCLE_1)
	s_or_b32 s44, s44, s47
	s_and_not1_b32 exec_lo, exec_lo, s43
	s_cbranch_execz .LBB4_888
.LBB4_835:                              ;   Parent Loop BB4_77 Depth=1
                                        ; =>  This Inner Loop Header: Depth=2
	s_add_co_i32 s46, s46, 1
	s_delay_alu instid0(SALU_CYCLE_1) | instskip(SKIP_1) | instid1(SALU_CYCLE_1)
	s_cmp_lg_u32 s46, 0x2710
	s_cselect_b32 s47, -1, 0
	s_and_b32 vcc_lo, exec_lo, s47
	s_cbranch_vccz .LBB4_837
; %bb.836:                              ;   in Loop: Header=BB4_835 Depth=2
	s_mov_b32 s57, -1
	s_or_b32 s45, s45, exec_lo
	s_and_saveexec_b32 s56, s47
	s_cbranch_execz .LBB4_834
	s_branch .LBB4_838
.LBB4_837:                              ;   in Loop: Header=BB4_835 Depth=2
	s_trap 2
	ds_load_b64 v[12:13], v0
	s_and_not1_b32 s47, s47, exec_lo
	s_mov_b32 s46, 0
	s_wait_storecnt 0x0
	s_wait_loadcnt_dscnt 0x0
	flat_load_b32 v11, v[12:13] scope:SCOPE_SYS
	s_wait_loadcnt_dscnt 0x0
	global_inv scope:SCOPE_SYS
	v_cmp_eq_u32_e32 vcc_lo, 0, v11
	s_and_b32 s56, vcc_lo, exec_lo
	s_delay_alu instid0(SALU_CYCLE_1)
	s_or_b32 s47, s47, s56
	s_mov_b32 s57, -1
	s_or_b32 s45, s45, exec_lo
	s_and_saveexec_b32 s56, s47
	s_cbranch_execz .LBB4_834
.LBB4_838:                              ;   in Loop: Header=BB4_835 Depth=2
	s_sleep 1
	s_trap 2
	ds_load_b64 v[12:13], v0
	s_wait_dscnt 0x0
	s_and_not1_b32 s45, s45, exec_lo
	v_cmp_ge_u64_e32 vcc_lo, v[12:13], v[26:27]
	s_or_not1_b32 s57, vcc_lo, exec_lo
	s_branch .LBB4_834
.LBB4_839:                              ;   in Loop: Header=BB4_77 Depth=1
	s_or_b32 exec_lo, exec_lo, s42
	s_and_saveexec_b32 s42, s43
	s_delay_alu instid0(SALU_CYCLE_1)
	s_xor_b32 s42, exec_lo, s42
	s_cbranch_execz .LBB4_841
; %bb.840:                              ;   in Loop: Header=BB4_77 Depth=1
	ds_store_b32 v0, v116
	s_trap 2
.LBB4_841:                              ;   in Loop: Header=BB4_77 Depth=1
	s_or_b32 exec_lo, exec_lo, s40
	;;#ASMSTART
	s_wakeup
	;;#ASMEND
.LBB4_842:                              ;   in Loop: Header=BB4_77 Depth=1
	s_or_b32 exec_lo, exec_lo, s21
.LBB4_843:                              ;   in Loop: Header=BB4_77 Depth=1
	s_and_not1_saveexec_b32 s20, s20
	s_cbranch_execz .LBB4_845
; %bb.844:                              ;   in Loop: Header=BB4_77 Depth=1
	;;#ASMSTART
	s_waitcnt lgkmcnt(0) vmcnt(0)
	;;#ASMEND
	s_barrier_signal -1
	s_barrier_wait -1
.LBB4_845:                              ;   in Loop: Header=BB4_77 Depth=1
	s_or_b32 exec_lo, exec_lo, s20
.LBB4_846:                              ;   in Loop: Header=BB4_77 Depth=1
	s_delay_alu instid0(SALU_CYCLE_1) | instskip(SKIP_2) | instid1(VALU_DEP_1)
	s_or_b32 exec_lo, exec_lo, s16
	v_and_b32_e32 v10, 32, v114
	s_mov_b32 s16, exec_lo
	v_cmpx_ne_u32_e32 0, v10
	s_cbranch_execz .LBB4_848
; %bb.847:                              ;   in Loop: Header=BB4_77 Depth=1
	v_add_nc_u64_e32 v[8:9], 1, v[8:9]
	global_wb scope:SCOPE_SYS
	s_wait_storecnt 0x0
	s_wait_loadcnt_dscnt 0x0
	flat_store_b64 v[20:21], v[8:9] scope:SCOPE_SYS
.LBB4_848:                              ;   in Loop: Header=BB4_77 Depth=1
	s_wait_xcnt 0x0
	s_or_b32 exec_lo, exec_lo, s16
	v_mov_b32_e32 v85, v84
.LBB4_849:                              ;   in Loop: Header=BB4_77 Depth=1
	s_or_b32 exec_lo, exec_lo, s19
	s_mov_b32 s16, s17
	s_and_saveexec_b32 s19, s14
	s_cbranch_execz .LBB4_999
; %bb.850:                              ;   in Loop: Header=BB4_77 Depth=1
	v_and_b32_e32 v10, 4, v114
	s_mov_b32 s20, exec_lo
	s_delay_alu instid0(VALU_DEP_1)
	v_cmpx_ne_u32_e32 0, v10
	s_cbranch_execz .LBB4_860
; %bb.851:                              ;   in Loop: Header=BB4_77 Depth=1
	v_add_nc_u64_e32 v[10:11], 1, v[8:9]
	s_mov_b32 s21, exec_lo
	s_wait_loadcnt_dscnt 0x1
	s_delay_alu instid0(VALU_DEP_1)
	v_cmpx_lt_u64_e64 v[32:33], v[10:11]
	s_cbranch_execz .LBB4_875
; %bb.852:                              ;   in Loop: Header=BB4_77 Depth=1
	v_and_b32_e32 v9, 64, v114
	s_mov_b32 s40, 0
	s_mov_b32 s45, 0
                                        ; implicit-def: $sgpr42
                                        ; implicit-def: $sgpr43
                                        ; implicit-def: $sgpr44
	s_delay_alu instid0(VALU_DEP_1)
	v_cmp_eq_u32_e32 vcc_lo, 0, v9
	s_branch .LBB4_856
.LBB4_853:                              ;   in Loop: Header=BB4_856 Depth=2
	s_wait_loadcnt_dscnt 0x0
	v_cmp_ge_u64_e64 s16, v[32:33], v[10:11]
	s_or_b32 s56, s56, exec_lo
	s_or_not1_b32 s47, s16, exec_lo
.LBB4_854:                              ;   in Loop: Header=BB4_856 Depth=2
	s_or_b32 exec_lo, exec_lo, s58
	s_delay_alu instid0(SALU_CYCLE_1)
	s_and_not1_b32 s16, s44, exec_lo
	s_and_b32 s44, s56, exec_lo
	s_and_not1_b32 s43, s43, exec_lo
	s_and_b32 s47, s47, exec_lo
	s_or_b32 s44, s16, s44
	s_or_b32 s43, s43, s47
.LBB4_855:                              ;   in Loop: Header=BB4_856 Depth=2
	s_or_b32 exec_lo, exec_lo, s46
	s_delay_alu instid0(SALU_CYCLE_1) | instskip(NEXT) | instid1(SALU_CYCLE_1)
	s_and_b32 s16, exec_lo, s43
	s_or_b32 s40, s16, s40
	s_and_not1_b32 s16, s42, exec_lo
	s_and_b32 s42, s44, exec_lo
	s_delay_alu instid0(SALU_CYCLE_1)
	s_or_b32 s42, s16, s42
	s_and_not1_b32 exec_lo, exec_lo, s40
	s_cbranch_execz .LBB4_872
.LBB4_856:                              ;   Parent Loop BB4_77 Depth=1
                                        ; =>  This Inner Loop Header: Depth=2
	s_sleep 1
	s_wait_loadcnt_dscnt 0x0
	flat_load_b64 v[32:33], v[20:21] scope:SCOPE_SYS
	s_or_b32 s44, s44, exec_lo
	s_or_b32 s43, s43, exec_lo
                                        ; implicit-def: $vgpr9
	s_wait_xcnt 0x0
	s_and_saveexec_b32 s46, vcc_lo
	s_cbranch_execz .LBB4_855
; %bb.857:                              ;   in Loop: Header=BB4_856 Depth=2
	s_cmp_lt_i32 s45, 0x270f
	s_mov_b32 s47, -1
	s_cselect_b32 s57, -1, 0
	s_cmp_gt_i32 s45, 0x270e
	s_cbranch_scc0 .LBB4_859
; %bb.858:                              ;   in Loop: Header=BB4_856 Depth=2
	s_trap 2
	ds_load_b64 v[12:13], v0
	s_and_not1_b32 s45, s57, exec_lo
	s_mov_b32 s56, 0
	s_wait_storecnt 0x0
	s_wait_loadcnt_dscnt 0x0
	flat_load_b32 v9, v[12:13] scope:SCOPE_SYS
	s_wait_loadcnt_dscnt 0x0
	global_inv scope:SCOPE_SYS
	v_cmp_eq_u32_e64 s16, 0, v9
	s_and_b32 s16, s16, exec_lo
	s_delay_alu instid0(SALU_CYCLE_1)
	s_or_b32 s57, s45, s16
	s_mov_b32 s45, 0
	s_and_saveexec_b32 s58, s57
	s_cbranch_execz .LBB4_854
	s_branch .LBB4_853
.LBB4_859:                              ;   in Loop: Header=BB4_856 Depth=2
	s_add_co_i32 s45, s45, 1
	s_mov_b32 s56, -1
                                        ; implicit-def: $vgpr9
	s_and_saveexec_b32 s58, s57
	s_cbranch_execz .LBB4_854
	s_branch .LBB4_853
.LBB4_860:                              ;   in Loop: Header=BB4_77 Depth=1
	s_or_b32 exec_lo, exec_lo, s20
	s_and_saveexec_b32 s16, s3
	s_cbranch_execz .LBB4_884
.LBB4_861:                              ;   in Loop: Header=BB4_77 Depth=1
	s_and_saveexec_b32 s20, s4
	s_delay_alu instid0(SALU_CYCLE_1)
	s_xor_b32 s20, exec_lo, s20
	s_cbranch_execz .LBB4_951
; %bb.862:                              ;   in Loop: Header=BB4_77 Depth=1
	s_and_saveexec_b32 s21, s7
	s_cbranch_execz .LBB4_950
; %bb.863:                              ;   in Loop: Header=BB4_77 Depth=1
	s_mov_b32 s42, exec_lo
	s_mov_b32 s40, exec_lo
	v_mbcnt_lo_u32_b32 v10, s42, 0
	global_wb scope:SCOPE_DEV
	s_wait_storecnt 0x0
	s_wait_loadcnt_dscnt 0x0
	global_inv scope:SCOPE_DEV
	v_cmpx_eq_u32_e32 0, v10
	s_cbranch_execz .LBB4_865
; %bb.864:                              ;   in Loop: Header=BB4_77 Depth=1
	s_bcnt1_i32_b32 s42, s42
	s_delay_alu instid0(SALU_CYCLE_1)
	v_mov_b32_e32 v34, s42
	s_wait_loadcnt 0x0
	ds_add_u64 v0, v[34:35]
	s_trap 2
.LBB4_865:                              ;   in Loop: Header=BB4_77 Depth=1
	s_or_b32 exec_lo, exec_lo, s40
	s_trap 2
	ds_load_b64 v[10:11], v0
	s_wait_dscnt 0x0
	v_add_nc_u64_e32 v[26:27], v[26:27], v[36:37]
	s_mov_b32 s40, exec_lo
	s_delay_alu instid0(VALU_DEP_1)
	v_cmpx_lt_u64_e64 v[10:11], v[26:27]
	s_cbranch_execz .LBB4_949
; %bb.866:                              ;   in Loop: Header=BB4_77 Depth=1
	s_mov_b32 s42, 0
	s_mov_b32 s45, 0
                                        ; implicit-def: $sgpr43
                                        ; implicit-def: $sgpr44
	s_branch .LBB4_868
.LBB4_867:                              ;   in Loop: Header=BB4_868 Depth=2
	s_or_b32 exec_lo, exec_lo, s47
	s_delay_alu instid0(SALU_CYCLE_1) | instskip(NEXT) | instid1(SALU_CYCLE_1)
	s_and_b32 s46, exec_lo, s56
	s_or_b32 s42, s46, s42
	s_and_not1_b32 s43, s43, exec_lo
	s_and_b32 s46, s44, exec_lo
	s_delay_alu instid0(SALU_CYCLE_1)
	s_or_b32 s43, s43, s46
	s_and_not1_b32 exec_lo, exec_lo, s42
	s_cbranch_execz .LBB4_947
.LBB4_868:                              ;   Parent Loop BB4_77 Depth=1
                                        ; =>  This Inner Loop Header: Depth=2
	s_add_co_i32 s45, s45, 1
	s_delay_alu instid0(SALU_CYCLE_1) | instskip(SKIP_1) | instid1(SALU_CYCLE_1)
	s_cmp_lg_u32 s45, 0x2710
	s_cselect_b32 s46, -1, 0
	s_and_b32 vcc_lo, exec_lo, s46
	s_cbranch_vccz .LBB4_870
; %bb.869:                              ;   in Loop: Header=BB4_868 Depth=2
	s_mov_b32 s56, -1
	s_or_b32 s44, s44, exec_lo
	s_and_saveexec_b32 s47, s46
	s_cbranch_execz .LBB4_867
	s_branch .LBB4_871
.LBB4_870:                              ;   in Loop: Header=BB4_868 Depth=2
	s_trap 2
	ds_load_b64 v[10:11], v0
	s_and_not1_b32 s46, s46, exec_lo
	s_mov_b32 s45, 0
	s_wait_loadcnt_dscnt 0x0
	flat_load_b32 v10, v[10:11] scope:SCOPE_SYS
	s_wait_loadcnt_dscnt 0x0
	global_inv scope:SCOPE_SYS
	v_cmp_eq_u32_e32 vcc_lo, 0, v10
	s_and_b32 s47, vcc_lo, exec_lo
	s_delay_alu instid0(SALU_CYCLE_1)
	s_or_b32 s46, s46, s47
	s_mov_b32 s56, -1
	s_or_b32 s44, s44, exec_lo
	s_and_saveexec_b32 s47, s46
	s_cbranch_execz .LBB4_867
.LBB4_871:                              ;   in Loop: Header=BB4_868 Depth=2
	s_sleep 1
	s_trap 2
	ds_load_b64 v[10:11], v0
	s_wait_dscnt 0x0
	s_and_not1_b32 s44, s44, exec_lo
	v_cmp_ge_u64_e32 vcc_lo, v[10:11], v[26:27]
	s_or_not1_b32 s56, vcc_lo, exec_lo
	s_branch .LBB4_867
.LBB4_872:                              ;   in Loop: Header=BB4_77 Depth=1
	s_or_b32 exec_lo, exec_lo, s40
	s_xor_b32 s16, s42, -1
	s_delay_alu instid0(SALU_CYCLE_1) | instskip(NEXT) | instid1(SALU_CYCLE_1)
	s_and_saveexec_b32 s40, s16
	s_xor_b32 s16, exec_lo, s40
	s_cbranch_execz .LBB4_874
; %bb.873:                              ;   in Loop: Header=BB4_77 Depth=1
	v_or_b32_e32 v114, 64, v114
	s_wait_storecnt 0x0
	s_wait_loadcnt_dscnt 0x0
	ds_store_b32 v0, v9
	s_trap 2
.LBB4_874:                              ;   in Loop: Header=BB4_77 Depth=1
	s_or_b32 exec_lo, exec_lo, s16
.LBB4_875:                              ;   in Loop: Header=BB4_77 Depth=1
	s_delay_alu instid0(SALU_CYCLE_1) | instskip(SKIP_4) | instid1(VALU_DEP_2)
	s_or_b32 exec_lo, exec_lo, s21
	v_and_b32_e32 v9, 0x100, v114
	v_and_b32_e32 v34, 7, v8
	s_mov_b32 s16, -1
	;;#ASMSTART
	s_wakeup
	;;#ASMEND
	v_cmp_ne_u32_e32 vcc_lo, 0, v9
                                        ; implicit-def: $vgpr8_vgpr9
	s_and_saveexec_b32 s21, vcc_lo
	s_cbranch_execz .LBB4_879
; %bb.876:                              ;   in Loop: Header=BB4_77 Depth=1
	v_mad_nc_u64_u32 v[12:13], v34, 24, v[6:7]
	flat_load_b32 v8, v[12:13]
	s_wait_loadcnt_dscnt 0x0
	v_cmp_eq_u32_e64 s16, 1, v8
	v_cmp_ne_u32_e32 vcc_lo, 1, v8
                                        ; implicit-def: $vgpr8_vgpr9
	s_wait_xcnt 0x0
	s_and_saveexec_b32 s40, s16
	s_cbranch_execz .LBB4_878
; %bb.877:                              ;   in Loop: Header=BB4_77 Depth=1
	flat_load_b32 v8, v[12:13] offset:4 scope:SCOPE_SYS
	s_wait_loadcnt_dscnt 0x0
	v_ashrrev_i32_e32 v9, 31, v8
.LBB4_878:                              ;   in Loop: Header=BB4_77 Depth=1
	s_wait_xcnt 0x0
	s_or_b32 exec_lo, exec_lo, s40
	s_delay_alu instid0(SALU_CYCLE_1)
	s_or_not1_b32 s16, vcc_lo, exec_lo
.LBB4_879:                              ;   in Loop: Header=BB4_77 Depth=1
	s_or_b32 exec_lo, exec_lo, s21
	s_and_saveexec_b32 s21, s16
; %bb.880:                              ;   in Loop: Header=BB4_77 Depth=1
	v_mul_u64_e32 v[8:9], v[34:35], v[22:23]
; %bb.881:                              ;   in Loop: Header=BB4_77 Depth=1
	s_or_b32 exec_lo, exec_lo, s21
	s_delay_alu instid0(VALU_DEP_1)
	v_add_nc_u64_e32 v[8:9], v[24:25], v[8:9]
	v_and_b32_e32 v12, 0x2000, v114
	s_mov_b32 s16, exec_lo
	ds_store_b64 v0, v[8:9] offset:720
	v_cmpx_ne_u32_e32 0, v12
	s_cbranch_execz .LBB4_883
; %bb.882:                              ;   in Loop: Header=BB4_77 Depth=1
	ds_load_b64 v[8:9], v0 offset:872
	s_wait_dscnt 0x0
	v_add_nc_u64_e32 v[8:9], 1, v[8:9]
	ds_store_b64 v0, v[8:9] offset:872
.LBB4_883:                              ;   in Loop: Header=BB4_77 Depth=1
	s_or_b32 exec_lo, exec_lo, s16
	v_mov_b64_e32 v[8:9], v[10:11]
	s_or_b32 exec_lo, exec_lo, s20
	s_and_saveexec_b32 s16, s3
	s_cbranch_execnz .LBB4_861
.LBB4_884:                              ;   in Loop: Header=BB4_77 Depth=1
	s_or_b32 exec_lo, exec_lo, s16
	s_and_saveexec_b32 s16, s11
	s_delay_alu instid0(SALU_CYCLE_1)
	s_xor_b32 s20, exec_lo, s16
	s_cbranch_execz .LBB4_954
.LBB4_885:                              ;   in Loop: Header=BB4_77 Depth=1
	s_trap 2
	ds_load_b32 v10, v0
	v_sub_nc_u32_e32 v11, v42, v85
	s_wait_dscnt 0x0
	v_readfirstlane_b32 s16, v10
	v_and_b32_e32 v10, 16, v114
	s_delay_alu instid0(VALU_DEP_3) | instskip(SKIP_1) | instid1(VALU_DEP_2)
	v_min_i32_e32 v11, v84, v11
	s_cmp_eq_u32 s16, 0
	v_cmp_ne_u32_e64 s16, 0, v10
	s_delay_alu instid0(VALU_DEP_2) | instskip(SKIP_1) | instid1(SALU_CYCLE_1)
	v_cmp_lt_i32_e32 vcc_lo, 0, v11
	s_cselect_b32 s21, -1, 0
	s_and_b32 s21, vcc_lo, s21
	s_delay_alu instid0(SALU_CYCLE_1) | instskip(NEXT) | instid1(SALU_CYCLE_1)
	s_and_b32 s21, s16, s21
	s_and_saveexec_b32 s16, s21
	s_cbranch_execz .LBB4_887
; %bb.886:                              ;   in Loop: Header=BB4_77 Depth=1
	global_wb scope:SCOPE_SYS
	s_wait_loadcnt 0x0
	s_wait_storecnt 0x0
	global_inv scope:SCOPE_SYS
.LBB4_887:                              ;   in Loop: Header=BB4_77 Depth=1
	s_or_b32 exec_lo, exec_lo, s16
	s_and_not1_saveexec_b32 s16, s20
	s_cbranch_execz .LBB4_998
	s_branch .LBB4_955
.LBB4_888:                              ;   in Loop: Header=BB4_77 Depth=1
	s_or_b32 exec_lo, exec_lo, s43
	s_and_saveexec_b32 s43, s44
	s_delay_alu instid0(SALU_CYCLE_1)
	s_xor_b32 s43, exec_lo, s43
	s_cbranch_execz .LBB4_890
; %bb.889:                              ;   in Loop: Header=BB4_77 Depth=1
	ds_store_b32 v0, v116
	s_trap 2
.LBB4_890:                              ;   in Loop: Header=BB4_77 Depth=1
	s_or_b32 exec_lo, exec_lo, s42
	;;#ASMSTART
	s_wakeup
	;;#ASMEND
.LBB4_891:                              ;   in Loop: Header=BB4_77 Depth=1
	s_or_b32 exec_lo, exec_lo, s21
.LBB4_892:                              ;   in Loop: Header=BB4_77 Depth=1
	s_and_not1_saveexec_b32 s20, s20
	s_cbranch_execz .LBB4_894
; %bb.893:                              ;   in Loop: Header=BB4_77 Depth=1
	;;#ASMSTART
	s_waitcnt lgkmcnt(0) vmcnt(0)
	;;#ASMEND
	s_barrier_signal -1
	s_barrier_wait -1
.LBB4_894:                              ;   in Loop: Header=BB4_77 Depth=1
	s_or_b32 exec_lo, exec_lo, s20
.LBB4_895:                              ;   in Loop: Header=BB4_77 Depth=1
	s_delay_alu instid0(SALU_CYCLE_1) | instskip(NEXT) | instid1(SALU_CYCLE_1)
	s_or_b32 exec_lo, exec_lo, s15
	s_mov_b32 s15, exec_lo
	v_cmpx_ne_u32_e32 0, v10
	s_cbranch_execz .LBB4_899
; %bb.896:                              ;   in Loop: Header=BB4_77 Depth=1
	s_and_saveexec_b32 s20, s6
	s_cbranch_execz .LBB4_898
; %bb.897:                              ;   in Loop: Header=BB4_77 Depth=1
	global_wb scope:SCOPE_SYS
	s_wait_storecnt 0x0
	s_wait_loadcnt_dscnt 0x0
	flat_store_b32 v[28:29], v116 scope:SCOPE_SYS
.LBB4_898:                              ;   in Loop: Header=BB4_77 Depth=1
	s_wait_xcnt 0x0
	s_or_b32 exec_lo, exec_lo, s20
	v_add_nc_u64_e32 v[8:9], 1, v[8:9]
	global_wb scope:SCOPE_SYS
	s_wait_storecnt 0x0
	s_wait_loadcnt_dscnt 0x0
	flat_store_b64 v[20:21], v[8:9] scope:SCOPE_SYS
.LBB4_899:                              ;   in Loop: Header=BB4_77 Depth=1
	s_wait_xcnt 0x0
	s_or_b32 exec_lo, exec_lo, s15
	v_mov_b32_e32 v12, v84
.LBB4_900:                              ;   in Loop: Header=BB4_77 Depth=1
	s_or_b32 exec_lo, exec_lo, s19
	s_mov_b32 s19, s17
	s_mov_b32 s20, s16
	s_and_saveexec_b32 s15, s14
	s_cbranch_execz .LBB4_987
; %bb.901:                              ;   in Loop: Header=BB4_77 Depth=1
	v_dual_sub_nc_u32 v10, v42, v12 :: v_dual_bitop2_b32 v11, 8, v114 bitop3:0x40
	s_mov_b32 s19, exec_lo
	s_delay_alu instid0(VALU_DEP_1) | instskip(NEXT) | instid1(VALU_DEP_2)
	v_min_i32_e32 v10, v84, v10
	v_cmpx_ne_u32_e32 0, v11
	s_cbranch_execz .LBB4_911
; %bb.902:                              ;   in Loop: Header=BB4_77 Depth=1
	s_wait_loadcnt_dscnt 0x1
	v_add_nc_u64_e32 v[84:85], 8, v[32:33]
	v_add_nc_u64_e32 v[12:13], 1, v[8:9]
	s_mov_b32 s20, exec_lo
	s_delay_alu instid0(VALU_DEP_1)
	v_cmpx_lt_u64_e64 v[84:85], v[12:13]
	s_cbranch_execz .LBB4_927
; %bb.903:                              ;   in Loop: Header=BB4_77 Depth=1
	v_and_b32_e32 v9, 64, v114
	s_mov_b32 s21, 0
	s_mov_b32 s45, 0
                                        ; implicit-def: $sgpr42
                                        ; implicit-def: $sgpr43
                                        ; implicit-def: $sgpr44
	s_delay_alu instid0(VALU_DEP_1)
	v_cmp_eq_u32_e32 vcc_lo, 0, v9
	s_branch .LBB4_907
.LBB4_904:                              ;   in Loop: Header=BB4_907 Depth=2
	s_wait_loadcnt_dscnt 0x0
	v_add_nc_u64_e32 v[84:85], 8, v[32:33]
	s_or_b32 s56, s56, exec_lo
	s_delay_alu instid0(VALU_DEP_1)
	v_cmp_ge_u64_e64 s14, v[84:85], v[12:13]
	s_or_not1_b32 s47, s14, exec_lo
.LBB4_905:                              ;   in Loop: Header=BB4_907 Depth=2
	s_or_b32 exec_lo, exec_lo, s58
	s_delay_alu instid0(SALU_CYCLE_1)
	s_and_not1_b32 s14, s44, exec_lo
	s_and_b32 s44, s56, exec_lo
	s_and_not1_b32 s43, s43, exec_lo
	s_and_b32 s47, s47, exec_lo
	s_or_b32 s44, s14, s44
	s_or_b32 s43, s43, s47
.LBB4_906:                              ;   in Loop: Header=BB4_907 Depth=2
	s_or_b32 exec_lo, exec_lo, s46
	s_delay_alu instid0(SALU_CYCLE_1) | instskip(NEXT) | instid1(SALU_CYCLE_1)
	s_and_b32 s14, exec_lo, s43
	s_or_b32 s21, s14, s21
	s_and_not1_b32 s14, s42, exec_lo
	s_and_b32 s42, s44, exec_lo
	s_delay_alu instid0(SALU_CYCLE_1)
	s_or_b32 s42, s14, s42
	s_and_not1_b32 exec_lo, exec_lo, s21
	s_cbranch_execz .LBB4_924
.LBB4_907:                              ;   Parent Loop BB4_77 Depth=1
                                        ; =>  This Inner Loop Header: Depth=2
	s_sleep 1
	s_wait_loadcnt_dscnt 0x0
	flat_load_b64 v[32:33], v[20:21] scope:SCOPE_SYS
	s_or_b32 s44, s44, exec_lo
	s_or_b32 s43, s43, exec_lo
                                        ; implicit-def: $vgpr9
	s_wait_xcnt 0x0
	s_and_saveexec_b32 s46, vcc_lo
	s_cbranch_execz .LBB4_906
; %bb.908:                              ;   in Loop: Header=BB4_907 Depth=2
	s_cmp_lt_i32 s45, 0x270f
	s_mov_b32 s47, -1
	s_cselect_b32 s57, -1, 0
	s_cmp_gt_i32 s45, 0x270e
	s_cbranch_scc0 .LBB4_910
; %bb.909:                              ;   in Loop: Header=BB4_907 Depth=2
	s_trap 2
	ds_load_b64 v[84:85], v0
	s_and_not1_b32 s45, s57, exec_lo
	s_mov_b32 s56, 0
	s_wait_storecnt 0x0
	s_wait_loadcnt_dscnt 0x0
	flat_load_b32 v9, v[84:85] scope:SCOPE_SYS
	s_wait_loadcnt_dscnt 0x0
	global_inv scope:SCOPE_SYS
	v_cmp_eq_u32_e64 s14, 0, v9
	s_and_b32 s14, s14, exec_lo
	s_delay_alu instid0(SALU_CYCLE_1)
	s_or_b32 s57, s45, s14
	s_mov_b32 s45, 0
	s_and_saveexec_b32 s58, s57
	s_cbranch_execz .LBB4_905
	s_branch .LBB4_904
.LBB4_910:                              ;   in Loop: Header=BB4_907 Depth=2
	s_add_co_i32 s45, s45, 1
	s_mov_b32 s56, -1
                                        ; implicit-def: $vgpr9
	s_and_saveexec_b32 s58, s57
	s_cbranch_execz .LBB4_905
	s_branch .LBB4_904
.LBB4_911:                              ;   in Loop: Header=BB4_77 Depth=1
	s_or_b32 exec_lo, exec_lo, s19
	s_and_saveexec_b32 s14, s3
	s_cbranch_execnz .LBB4_936
.LBB4_912:                              ;   in Loop: Header=BB4_77 Depth=1
	s_or_b32 exec_lo, exec_lo, s14
                                        ; implicit-def: $vgpr11
	s_and_saveexec_b32 s14, s28
	s_delay_alu instid0(SALU_CYCLE_1)
	s_xor_b32 s14, exec_lo, s14
	s_cbranch_execz .LBB4_980
.LBB4_913:                              ;   in Loop: Header=BB4_77 Depth=1
	s_and_saveexec_b32 s19, s4
	s_delay_alu instid0(SALU_CYCLE_1)
	s_xor_b32 s19, exec_lo, s19
	s_cbranch_execz .LBB4_970
; %bb.914:                              ;   in Loop: Header=BB4_77 Depth=1
	s_and_saveexec_b32 s20, s7
	s_cbranch_execz .LBB4_969
; %bb.915:                              ;   in Loop: Header=BB4_77 Depth=1
	s_mov_b32 s42, exec_lo
	s_mov_b32 s21, exec_lo
	v_mbcnt_lo_u32_b32 v10, s42, 0
	;;#ASMSTART
	s_waitcnt lgkmcnt(0) vmcnt(0)
	;;#ASMEND
	s_delay_alu instid0(VALU_DEP_1)
	v_cmpx_eq_u32_e32 0, v10
	s_cbranch_execz .LBB4_917
; %bb.916:                              ;   in Loop: Header=BB4_77 Depth=1
	s_bcnt1_i32_b32 s42, s42
	s_delay_alu instid0(SALU_CYCLE_1)
	v_mov_b32_e32 v34, s42
	s_wait_storecnt 0x0
	s_wait_loadcnt_dscnt 0x0
	ds_add_u64 v0, v[34:35]
	s_trap 2
.LBB4_917:                              ;   in Loop: Header=BB4_77 Depth=1
	s_or_b32 exec_lo, exec_lo, s21
	s_trap 2
	ds_load_b64 v[10:11], v0
	s_wait_dscnt 0x0
	v_add_nc_u64_e32 v[26:27], v[26:27], v[36:37]
	s_mov_b32 s21, exec_lo
	s_delay_alu instid0(VALU_DEP_1)
	v_cmpx_lt_u64_e64 v[10:11], v[26:27]
	s_cbranch_execz .LBB4_968
; %bb.918:                              ;   in Loop: Header=BB4_77 Depth=1
	s_mov_b32 s42, 0
	s_mov_b32 s45, 0
                                        ; implicit-def: $sgpr43
                                        ; implicit-def: $sgpr44
	s_branch .LBB4_920
.LBB4_919:                              ;   in Loop: Header=BB4_920 Depth=2
	s_or_b32 exec_lo, exec_lo, s47
	s_delay_alu instid0(SALU_CYCLE_1) | instskip(NEXT) | instid1(SALU_CYCLE_1)
	s_and_b32 s46, exec_lo, s56
	s_or_b32 s42, s46, s42
	s_and_not1_b32 s43, s43, exec_lo
	s_and_b32 s46, s44, exec_lo
	s_delay_alu instid0(SALU_CYCLE_1)
	s_or_b32 s43, s43, s46
	s_and_not1_b32 exec_lo, exec_lo, s42
	s_cbranch_execz .LBB4_966
.LBB4_920:                              ;   Parent Loop BB4_77 Depth=1
                                        ; =>  This Inner Loop Header: Depth=2
	s_add_co_i32 s45, s45, 1
	s_delay_alu instid0(SALU_CYCLE_1) | instskip(SKIP_1) | instid1(SALU_CYCLE_1)
	s_cmp_lg_u32 s45, 0x2710
	s_cselect_b32 s46, -1, 0
	s_and_b32 vcc_lo, exec_lo, s46
	s_cbranch_vccz .LBB4_922
; %bb.921:                              ;   in Loop: Header=BB4_920 Depth=2
	s_mov_b32 s56, -1
	s_or_b32 s44, s44, exec_lo
	s_and_saveexec_b32 s47, s46
	s_cbranch_execz .LBB4_919
	s_branch .LBB4_923
.LBB4_922:                              ;   in Loop: Header=BB4_920 Depth=2
	s_trap 2
	ds_load_b64 v[10:11], v0
	s_and_not1_b32 s46, s46, exec_lo
	s_mov_b32 s45, 0
	s_wait_storecnt 0x0
	s_wait_loadcnt_dscnt 0x0
	flat_load_b32 v10, v[10:11] scope:SCOPE_SYS
	s_wait_loadcnt_dscnt 0x0
	global_inv scope:SCOPE_SYS
	v_cmp_eq_u32_e32 vcc_lo, 0, v10
	s_and_b32 s47, vcc_lo, exec_lo
	s_delay_alu instid0(SALU_CYCLE_1)
	s_or_b32 s46, s46, s47
	s_mov_b32 s56, -1
	s_or_b32 s44, s44, exec_lo
	s_and_saveexec_b32 s47, s46
	s_cbranch_execz .LBB4_919
.LBB4_923:                              ;   in Loop: Header=BB4_920 Depth=2
	s_sleep 1
	s_trap 2
	ds_load_b64 v[10:11], v0
	s_wait_dscnt 0x0
	s_and_not1_b32 s44, s44, exec_lo
	v_cmp_ge_u64_e32 vcc_lo, v[10:11], v[26:27]
	s_or_not1_b32 s56, vcc_lo, exec_lo
	s_branch .LBB4_919
.LBB4_924:                              ;   in Loop: Header=BB4_77 Depth=1
	s_or_b32 exec_lo, exec_lo, s21
	s_xor_b32 s14, s42, -1
	s_delay_alu instid0(SALU_CYCLE_1) | instskip(NEXT) | instid1(SALU_CYCLE_1)
	s_and_saveexec_b32 s21, s14
	s_xor_b32 s14, exec_lo, s21
	s_cbranch_execz .LBB4_926
; %bb.925:                              ;   in Loop: Header=BB4_77 Depth=1
	v_or_b32_e32 v114, 64, v114
	s_wait_storecnt 0x0
	s_wait_loadcnt_dscnt 0x0
	ds_store_b32 v0, v9
	s_trap 2
.LBB4_926:                              ;   in Loop: Header=BB4_77 Depth=1
	s_or_b32 exec_lo, exec_lo, s14
.LBB4_927:                              ;   in Loop: Header=BB4_77 Depth=1
	s_delay_alu instid0(SALU_CYCLE_1) | instskip(SKIP_4) | instid1(VALU_DEP_2)
	s_or_b32 exec_lo, exec_lo, s20
	v_and_b32_e32 v9, 0x100, v114
	v_and_b32_e32 v34, 7, v8
	s_mov_b32 s14, -1
	;;#ASMSTART
	s_wakeup
	;;#ASMEND
	v_cmp_ne_u32_e32 vcc_lo, 0, v9
                                        ; implicit-def: $vgpr8_vgpr9
	s_and_saveexec_b32 s20, vcc_lo
	s_cbranch_execz .LBB4_931
; %bb.928:                              ;   in Loop: Header=BB4_77 Depth=1
	v_mad_nc_u64_u32 v[84:85], v34, 24, v[6:7]
	v_ashrrev_i32_e32 v11, 31, v10
	s_clause 0x1
	flat_load_b32 v8, v[84:85]
	flat_store_b64 v[84:85], v[10:11] offset:8
	s_wait_loadcnt_dscnt 0x1
	v_cmp_eq_u32_e64 s14, 1, v8
	v_cmp_ne_u32_e32 vcc_lo, 1, v8
                                        ; implicit-def: $vgpr8_vgpr9
	s_wait_xcnt 0x0
	s_and_saveexec_b32 s21, s14
	s_cbranch_execz .LBB4_930
; %bb.929:                              ;   in Loop: Header=BB4_77 Depth=1
	flat_load_b32 v8, v[84:85] offset:4 scope:SCOPE_SYS
	s_wait_loadcnt_dscnt 0x0
	v_ashrrev_i32_e32 v9, 31, v8
.LBB4_930:                              ;   in Loop: Header=BB4_77 Depth=1
	s_wait_xcnt 0x0
	s_or_b32 exec_lo, exec_lo, s21
	s_delay_alu instid0(SALU_CYCLE_1)
	s_or_not1_b32 s14, vcc_lo, exec_lo
.LBB4_931:                              ;   in Loop: Header=BB4_77 Depth=1
	s_or_b32 exec_lo, exec_lo, s20
	s_and_saveexec_b32 s20, s14
; %bb.932:                              ;   in Loop: Header=BB4_77 Depth=1
	v_mul_u64_e32 v[8:9], v[34:35], v[22:23]
; %bb.933:                              ;   in Loop: Header=BB4_77 Depth=1
	s_or_b32 exec_lo, exec_lo, s20
	s_delay_alu instid0(VALU_DEP_1)
	v_add_nc_u64_e32 v[8:9], v[24:25], v[8:9]
	v_and_b32_e32 v11, 0x2000, v114
	s_mov_b32 s14, exec_lo
	ds_store_b64 v0, v[8:9] offset:784
	v_cmpx_ne_u32_e32 0, v11
	s_cbranch_execz .LBB4_935
; %bb.934:                              ;   in Loop: Header=BB4_77 Depth=1
	ds_load_b64 v[8:9], v0 offset:872
	s_wait_dscnt 0x0
	v_add_nc_u64_e32 v[8:9], 1, v[8:9]
	ds_store_b64 v0, v[8:9] offset:872
.LBB4_935:                              ;   in Loop: Header=BB4_77 Depth=1
	s_or_b32 exec_lo, exec_lo, s14
	v_mov_b64_e32 v[8:9], v[12:13]
	s_or_b32 exec_lo, exec_lo, s19
	s_and_saveexec_b32 s14, s3
	s_cbranch_execz .LBB4_912
.LBB4_936:                              ;   in Loop: Header=BB4_77 Depth=1
	s_and_saveexec_b32 s19, s4
	s_delay_alu instid0(SALU_CYCLE_1)
	s_xor_b32 s19, exec_lo, s19
	s_cbranch_execz .LBB4_977
; %bb.937:                              ;   in Loop: Header=BB4_77 Depth=1
	s_and_saveexec_b32 s20, s7
	s_cbranch_execz .LBB4_976
; %bb.938:                              ;   in Loop: Header=BB4_77 Depth=1
	s_mov_b32 s42, exec_lo
	s_mov_b32 s21, exec_lo
	v_mbcnt_lo_u32_b32 v11, s42, 0
	global_wb scope:SCOPE_DEV
	s_wait_storecnt 0x0
	s_wait_loadcnt_dscnt 0x0
	global_inv scope:SCOPE_DEV
	v_cmpx_eq_u32_e32 0, v11
	s_cbranch_execz .LBB4_940
; %bb.939:                              ;   in Loop: Header=BB4_77 Depth=1
	s_bcnt1_i32_b32 s42, s42
	s_delay_alu instid0(SALU_CYCLE_1)
	v_mov_b32_e32 v34, s42
	s_wait_loadcnt 0x0
	ds_add_u64 v0, v[34:35]
	s_trap 2
.LBB4_940:                              ;   in Loop: Header=BB4_77 Depth=1
	s_or_b32 exec_lo, exec_lo, s21
	s_trap 2
	ds_load_b64 v[12:13], v0
	s_wait_dscnt 0x0
	v_add_nc_u64_e32 v[26:27], v[26:27], v[36:37]
	s_mov_b32 s21, exec_lo
	s_delay_alu instid0(VALU_DEP_1)
	v_cmpx_lt_u64_e64 v[12:13], v[26:27]
	s_cbranch_execz .LBB4_975
; %bb.941:                              ;   in Loop: Header=BB4_77 Depth=1
	s_mov_b32 s42, 0
	s_mov_b32 s45, 0
                                        ; implicit-def: $sgpr43
                                        ; implicit-def: $sgpr44
	s_branch .LBB4_943
.LBB4_942:                              ;   in Loop: Header=BB4_943 Depth=2
	s_or_b32 exec_lo, exec_lo, s47
	s_delay_alu instid0(SALU_CYCLE_1) | instskip(NEXT) | instid1(SALU_CYCLE_1)
	s_and_b32 s46, exec_lo, s56
	s_or_b32 s42, s46, s42
	s_and_not1_b32 s43, s43, exec_lo
	s_and_b32 s46, s44, exec_lo
	s_delay_alu instid0(SALU_CYCLE_1)
	s_or_b32 s43, s43, s46
	s_and_not1_b32 exec_lo, exec_lo, s42
	s_cbranch_execz .LBB4_973
.LBB4_943:                              ;   Parent Loop BB4_77 Depth=1
                                        ; =>  This Inner Loop Header: Depth=2
	s_add_co_i32 s45, s45, 1
	s_delay_alu instid0(SALU_CYCLE_1) | instskip(SKIP_1) | instid1(SALU_CYCLE_1)
	s_cmp_lg_u32 s45, 0x2710
	s_cselect_b32 s46, -1, 0
	s_and_b32 vcc_lo, exec_lo, s46
	s_cbranch_vccz .LBB4_945
; %bb.944:                              ;   in Loop: Header=BB4_943 Depth=2
	s_mov_b32 s56, -1
	s_or_b32 s44, s44, exec_lo
	s_and_saveexec_b32 s47, s46
	s_cbranch_execz .LBB4_942
	s_branch .LBB4_946
.LBB4_945:                              ;   in Loop: Header=BB4_943 Depth=2
	s_trap 2
	ds_load_b64 v[12:13], v0
	s_and_not1_b32 s46, s46, exec_lo
	s_mov_b32 s45, 0
	s_wait_loadcnt_dscnt 0x0
	flat_load_b32 v11, v[12:13] scope:SCOPE_SYS
	s_wait_loadcnt_dscnt 0x0
	global_inv scope:SCOPE_SYS
	v_cmp_eq_u32_e32 vcc_lo, 0, v11
	s_and_b32 s47, vcc_lo, exec_lo
	s_delay_alu instid0(SALU_CYCLE_1)
	s_or_b32 s46, s46, s47
	s_mov_b32 s56, -1
	s_or_b32 s44, s44, exec_lo
	s_and_saveexec_b32 s47, s46
	s_cbranch_execz .LBB4_942
.LBB4_946:                              ;   in Loop: Header=BB4_943 Depth=2
	s_sleep 1
	s_trap 2
	ds_load_b64 v[12:13], v0
	s_wait_dscnt 0x0
	s_and_not1_b32 s44, s44, exec_lo
	v_cmp_ge_u64_e32 vcc_lo, v[12:13], v[26:27]
	s_or_not1_b32 s56, vcc_lo, exec_lo
	s_branch .LBB4_942
.LBB4_947:                              ;   in Loop: Header=BB4_77 Depth=1
	s_or_b32 exec_lo, exec_lo, s42
	s_and_saveexec_b32 s42, s43
	s_delay_alu instid0(SALU_CYCLE_1)
	s_xor_b32 s42, exec_lo, s42
	s_cbranch_execz .LBB4_949
; %bb.948:                              ;   in Loop: Header=BB4_77 Depth=1
	ds_store_b32 v0, v116
	s_trap 2
.LBB4_949:                              ;   in Loop: Header=BB4_77 Depth=1
	s_or_b32 exec_lo, exec_lo, s40
	;;#ASMSTART
	s_wakeup
	;;#ASMEND
.LBB4_950:                              ;   in Loop: Header=BB4_77 Depth=1
	s_or_b32 exec_lo, exec_lo, s21
.LBB4_951:                              ;   in Loop: Header=BB4_77 Depth=1
	s_and_not1_saveexec_b32 s20, s20
	s_cbranch_execz .LBB4_953
; %bb.952:                              ;   in Loop: Header=BB4_77 Depth=1
	global_wb scope:SCOPE_DEV
	s_wait_storecnt 0x0
	s_wait_loadcnt_dscnt 0x0
	global_inv scope:SCOPE_DEV
	s_barrier_signal -1
	s_barrier_wait -1
.LBB4_953:                              ;   in Loop: Header=BB4_77 Depth=1
	s_or_b32 exec_lo, exec_lo, s20
	s_delay_alu instid0(SALU_CYCLE_1) | instskip(SKIP_1) | instid1(SALU_CYCLE_1)
	s_or_b32 exec_lo, exec_lo, s16
	s_and_saveexec_b32 s16, s11
	s_xor_b32 s20, exec_lo, s16
	s_cbranch_execnz .LBB4_885
.LBB4_954:                              ;   in Loop: Header=BB4_77 Depth=1
	s_and_not1_saveexec_b32 s16, s20
	s_cbranch_execz .LBB4_998
.LBB4_955:                              ;   in Loop: Header=BB4_77 Depth=1
	s_and_saveexec_b32 s20, s4
	s_delay_alu instid0(SALU_CYCLE_1)
	s_xor_b32 s20, exec_lo, s20
	s_cbranch_execz .LBB4_995
; %bb.956:                              ;   in Loop: Header=BB4_77 Depth=1
	s_and_saveexec_b32 s21, s7
	s_cbranch_execz .LBB4_994
; %bb.957:                              ;   in Loop: Header=BB4_77 Depth=1
	s_mov_b32 s42, exec_lo
	s_mov_b32 s40, exec_lo
	v_mbcnt_lo_u32_b32 v10, s42, 0
	;;#ASMSTART
	s_waitcnt lgkmcnt(0) vmcnt(0)
	;;#ASMEND
	s_delay_alu instid0(VALU_DEP_1)
	v_cmpx_eq_u32_e32 0, v10
	s_cbranch_execz .LBB4_959
; %bb.958:                              ;   in Loop: Header=BB4_77 Depth=1
	s_bcnt1_i32_b32 s42, s42
	s_delay_alu instid0(SALU_CYCLE_1)
	v_mov_b32_e32 v34, s42
	s_wait_storecnt 0x0
	s_wait_loadcnt_dscnt 0x0
	ds_add_u64 v0, v[34:35]
	s_trap 2
.LBB4_959:                              ;   in Loop: Header=BB4_77 Depth=1
	s_or_b32 exec_lo, exec_lo, s40
	s_trap 2
	ds_load_b64 v[10:11], v0
	s_wait_dscnt 0x0
	v_add_nc_u64_e32 v[26:27], v[26:27], v[36:37]
	s_mov_b32 s40, exec_lo
	s_delay_alu instid0(VALU_DEP_1)
	v_cmpx_lt_u64_e64 v[10:11], v[26:27]
	s_cbranch_execz .LBB4_993
; %bb.960:                              ;   in Loop: Header=BB4_77 Depth=1
	s_mov_b32 s42, 0
	s_mov_b32 s45, 0
                                        ; implicit-def: $sgpr43
                                        ; implicit-def: $sgpr44
	s_branch .LBB4_962
.LBB4_961:                              ;   in Loop: Header=BB4_962 Depth=2
	s_or_b32 exec_lo, exec_lo, s47
	s_delay_alu instid0(SALU_CYCLE_1) | instskip(NEXT) | instid1(SALU_CYCLE_1)
	s_and_b32 s46, exec_lo, s56
	s_or_b32 s42, s46, s42
	s_and_not1_b32 s43, s43, exec_lo
	s_and_b32 s46, s44, exec_lo
	s_delay_alu instid0(SALU_CYCLE_1)
	s_or_b32 s43, s43, s46
	s_and_not1_b32 exec_lo, exec_lo, s42
	s_cbranch_execz .LBB4_991
.LBB4_962:                              ;   Parent Loop BB4_77 Depth=1
                                        ; =>  This Inner Loop Header: Depth=2
	s_add_co_i32 s45, s45, 1
	s_delay_alu instid0(SALU_CYCLE_1) | instskip(SKIP_1) | instid1(SALU_CYCLE_1)
	s_cmp_lg_u32 s45, 0x2710
	s_cselect_b32 s46, -1, 0
	s_and_b32 vcc_lo, exec_lo, s46
	s_cbranch_vccz .LBB4_964
; %bb.963:                              ;   in Loop: Header=BB4_962 Depth=2
	s_mov_b32 s56, -1
	s_or_b32 s44, s44, exec_lo
	s_and_saveexec_b32 s47, s46
	s_cbranch_execz .LBB4_961
	s_branch .LBB4_965
.LBB4_964:                              ;   in Loop: Header=BB4_962 Depth=2
	s_trap 2
	ds_load_b64 v[10:11], v0
	s_and_not1_b32 s46, s46, exec_lo
	s_mov_b32 s45, 0
	s_wait_storecnt 0x0
	s_wait_loadcnt_dscnt 0x0
	flat_load_b32 v10, v[10:11] scope:SCOPE_SYS
	s_wait_loadcnt_dscnt 0x0
	global_inv scope:SCOPE_SYS
	v_cmp_eq_u32_e32 vcc_lo, 0, v10
	s_and_b32 s47, vcc_lo, exec_lo
	s_delay_alu instid0(SALU_CYCLE_1)
	s_or_b32 s46, s46, s47
	s_mov_b32 s56, -1
	s_or_b32 s44, s44, exec_lo
	s_and_saveexec_b32 s47, s46
	s_cbranch_execz .LBB4_961
.LBB4_965:                              ;   in Loop: Header=BB4_962 Depth=2
	s_sleep 1
	s_trap 2
	ds_load_b64 v[10:11], v0
	s_wait_dscnt 0x0
	s_and_not1_b32 s44, s44, exec_lo
	v_cmp_ge_u64_e32 vcc_lo, v[10:11], v[26:27]
	s_or_not1_b32 s56, vcc_lo, exec_lo
	s_branch .LBB4_961
.LBB4_966:                              ;   in Loop: Header=BB4_77 Depth=1
	s_or_b32 exec_lo, exec_lo, s42
	s_and_saveexec_b32 s42, s43
	s_delay_alu instid0(SALU_CYCLE_1)
	s_xor_b32 s42, exec_lo, s42
	s_cbranch_execz .LBB4_968
; %bb.967:                              ;   in Loop: Header=BB4_77 Depth=1
	ds_store_b32 v0, v116
	s_trap 2
.LBB4_968:                              ;   in Loop: Header=BB4_77 Depth=1
	s_or_b32 exec_lo, exec_lo, s21
	;;#ASMSTART
	s_wakeup
	;;#ASMEND
.LBB4_969:                              ;   in Loop: Header=BB4_77 Depth=1
	s_or_b32 exec_lo, exec_lo, s20
.LBB4_970:                              ;   in Loop: Header=BB4_77 Depth=1
	s_and_not1_saveexec_b32 s19, s19
	s_cbranch_execz .LBB4_972
; %bb.971:                              ;   in Loop: Header=BB4_77 Depth=1
	;;#ASMSTART
	s_waitcnt lgkmcnt(0) vmcnt(0)
	;;#ASMEND
	s_barrier_signal -1
	s_barrier_wait -1
.LBB4_972:                              ;   in Loop: Header=BB4_77 Depth=1
	s_or_b32 exec_lo, exec_lo, s19
	v_and_b32_e32 v11, 16, v114
                                        ; implicit-def: $vgpr10
	s_and_not1_saveexec_b32 s19, s14
	s_cbranch_execz .LBB4_984
	s_branch .LBB4_981
.LBB4_973:                              ;   in Loop: Header=BB4_77 Depth=1
	s_or_b32 exec_lo, exec_lo, s42
	s_and_saveexec_b32 s42, s43
	s_delay_alu instid0(SALU_CYCLE_1)
	s_xor_b32 s42, exec_lo, s42
	s_cbranch_execz .LBB4_975
; %bb.974:                              ;   in Loop: Header=BB4_77 Depth=1
	ds_store_b32 v0, v116
	s_trap 2
.LBB4_975:                              ;   in Loop: Header=BB4_77 Depth=1
	s_or_b32 exec_lo, exec_lo, s21
	;;#ASMSTART
	s_wakeup
	;;#ASMEND
.LBB4_976:                              ;   in Loop: Header=BB4_77 Depth=1
	s_or_b32 exec_lo, exec_lo, s20
.LBB4_977:                              ;   in Loop: Header=BB4_77 Depth=1
	s_and_not1_saveexec_b32 s19, s19
	s_cbranch_execz .LBB4_979
; %bb.978:                              ;   in Loop: Header=BB4_77 Depth=1
	global_wb scope:SCOPE_DEV
	s_wait_storecnt 0x0
	s_wait_loadcnt_dscnt 0x0
	global_inv scope:SCOPE_DEV
	s_barrier_signal -1
	s_barrier_wait -1
.LBB4_979:                              ;   in Loop: Header=BB4_77 Depth=1
	s_or_b32 exec_lo, exec_lo, s19
	s_delay_alu instid0(SALU_CYCLE_1) | instskip(SKIP_1) | instid1(SALU_CYCLE_1)
	s_or_b32 exec_lo, exec_lo, s14
                                        ; implicit-def: $vgpr11
	s_and_saveexec_b32 s14, s28
	s_xor_b32 s14, exec_lo, s14
	s_cbranch_execnz .LBB4_913
.LBB4_980:                              ;   in Loop: Header=BB4_77 Depth=1
	s_and_not1_saveexec_b32 s19, s14
	s_cbranch_execz .LBB4_984
.LBB4_981:                              ;   in Loop: Header=BB4_77 Depth=1
	s_trap 2
	ds_load_b32 v11, v0
	v_cmp_lt_i32_e32 vcc_lo, 0, v10
	s_wait_dscnt 0x0
	v_readfirstlane_b32 s14, v11
	v_and_b32_e32 v11, 16, v114
	s_cmp_eq_u32 s14, 0
	s_delay_alu instid0(VALU_DEP_1) | instskip(SKIP_3) | instid1(SALU_CYCLE_1)
	v_cmp_ne_u32_e64 s14, 0, v11
	s_cselect_b32 s20, -1, 0
	v_and_b32_e32 v11, 16, v114
	s_and_b32 s20, vcc_lo, s20
	s_and_b32 s20, s14, s20
	s_delay_alu instid0(SALU_CYCLE_1)
	s_and_saveexec_b32 s14, s20
	s_cbranch_execz .LBB4_983
; %bb.982:                              ;   in Loop: Header=BB4_77 Depth=1
	v_mov_b32_e32 v11, 1
	global_wb scope:SCOPE_SYS
	s_wait_loadcnt 0x0
	s_wait_storecnt 0x0
	global_inv scope:SCOPE_SYS
.LBB4_983:                              ;   in Loop: Header=BB4_77 Depth=1
	s_or_b32 exec_lo, exec_lo, s14
.LBB4_984:                              ;   in Loop: Header=BB4_77 Depth=1
	s_delay_alu instid0(SALU_CYCLE_1)
	s_or_b32 exec_lo, exec_lo, s19
	s_mov_b32 s14, s17
	s_mov_b32 s20, s16
	s_mov_b32 s19, exec_lo
	v_cmpx_ne_u32_e32 0, v11
; %bb.985:                              ;   in Loop: Header=BB4_77 Depth=1
	s_and_not1_b32 s14, s16, exec_lo
	s_and_b32 s20, s5, exec_lo
	s_and_not1_b32 s21, s17, exec_lo
	s_and_b32 s42, s6, exec_lo
	s_or_b32 s20, s14, s20
	s_or_b32 s14, s21, s42
; %bb.986:                              ;   in Loop: Header=BB4_77 Depth=1
	s_or_b32 exec_lo, exec_lo, s19
	s_delay_alu instid0(SALU_CYCLE_1)
	s_and_not1_b32 s19, s16, exec_lo
	s_and_b32 s20, s20, exec_lo
	s_and_not1_b32 s21, s17, exec_lo
	s_and_b32 s14, s14, exec_lo
	s_or_b32 s20, s19, s20
	s_or_b32 s19, s21, s14
.LBB4_987:                              ;   in Loop: Header=BB4_77 Depth=1
	s_or_b32 exec_lo, exec_lo, s15
	s_delay_alu instid0(SALU_CYCLE_1)
	s_and_not1_b32 s14, s16, exec_lo
	s_and_b32 s15, s20, exec_lo
	s_and_not1_b32 s17, s17, exec_lo
	s_and_b32 s19, s19, exec_lo
	s_or_b32 s16, s14, s15
	s_or_b32 s17, s17, s19
.LBB4_988:                              ;   in Loop: Header=BB4_77 Depth=1
	s_or_b32 exec_lo, exec_lo, s18
	s_and_saveexec_b32 s14, s17
	s_cbranch_execz .LBB4_990
; %bb.989:                              ;   in Loop: Header=BB4_77 Depth=1
	s_or_b32 s16, s16, exec_lo
	global_wb scope:SCOPE_SYS
	s_wait_storecnt 0x0
	s_wait_loadcnt_dscnt 0x0
	flat_store_b32 v[28:29], v116 scope:SCOPE_SYS
.LBB4_990:                              ;   in Loop: Header=BB4_77 Depth=1
	s_wait_xcnt 0x0
	s_or_b32 exec_lo, exec_lo, s14
	s_delay_alu instid0(SALU_CYCLE_1) | instskip(SKIP_1) | instid1(SALU_CYCLE_1)
	s_and_not1_b32 s14, s40, exec_lo
	s_and_b32 s15, s16, exec_lo
	s_or_b32 s40, s14, s15
	s_or_b32 exec_lo, exec_lo, s41
	s_and_saveexec_b32 s14, s40
	s_cbranch_execz .LBB4_76
	s_branch .LBB4_1002
.LBB4_991:                              ;   in Loop: Header=BB4_77 Depth=1
	s_or_b32 exec_lo, exec_lo, s42
	s_and_saveexec_b32 s42, s43
	s_delay_alu instid0(SALU_CYCLE_1)
	s_xor_b32 s42, exec_lo, s42
	s_cbranch_execz .LBB4_993
; %bb.992:                              ;   in Loop: Header=BB4_77 Depth=1
	ds_store_b32 v0, v116
	s_trap 2
.LBB4_993:                              ;   in Loop: Header=BB4_77 Depth=1
	s_or_b32 exec_lo, exec_lo, s40
	;;#ASMSTART
	s_wakeup
	;;#ASMEND
.LBB4_994:                              ;   in Loop: Header=BB4_77 Depth=1
	s_or_b32 exec_lo, exec_lo, s21
.LBB4_995:                              ;   in Loop: Header=BB4_77 Depth=1
	s_and_not1_saveexec_b32 s20, s20
	s_cbranch_execz .LBB4_997
; %bb.996:                              ;   in Loop: Header=BB4_77 Depth=1
	;;#ASMSTART
	s_waitcnt lgkmcnt(0) vmcnt(0)
	;;#ASMEND
	s_barrier_signal -1
	s_barrier_wait -1
.LBB4_997:                              ;   in Loop: Header=BB4_77 Depth=1
	s_or_b32 exec_lo, exec_lo, s20
.LBB4_998:                              ;   in Loop: Header=BB4_77 Depth=1
	s_delay_alu instid0(SALU_CYCLE_1) | instskip(SKIP_2) | instid1(VALU_DEP_1)
	s_or_b32 exec_lo, exec_lo, s16
	v_and_b32_e32 v10, 32, v114
	s_and_not1_b32 s16, s17, exec_lo
	v_cmp_ne_u32_e32 vcc_lo, 0, v10
	s_and_b32 s20, vcc_lo, exec_lo
	s_delay_alu instid0(SALU_CYCLE_1)
	s_or_b32 s16, s16, s20
.LBB4_999:                              ;   in Loop: Header=BB4_77 Depth=1
	s_or_b32 exec_lo, exec_lo, s19
	s_delay_alu instid0(SALU_CYCLE_1) | instskip(SKIP_1) | instid1(SALU_CYCLE_1)
	s_and_not1_b32 s17, s17, exec_lo
	s_and_b32 s16, s16, exec_lo
	s_or_b32 s17, s17, s16
.LBB4_1000:                             ;   in Loop: Header=BB4_77 Depth=1
	s_or_b32 exec_lo, exec_lo, s18
	s_delay_alu instid0(SALU_CYCLE_1)
	s_and_b32 s40, s17, exec_lo
                                        ; implicit-def: $vgpr84
                                        ; implicit-def: $vgpr42
                                        ; implicit-def: $vgpr10_vgpr11
	s_and_not1_saveexec_b32 s41, s41
	s_cbranch_execnz .LBB4_86
.LBB4_1001:                             ;   in Loop: Header=BB4_77 Depth=1
	s_or_b32 exec_lo, exec_lo, s41
	s_and_saveexec_b32 s14, s40
	s_cbranch_execz .LBB4_76
.LBB4_1002:                             ;   in Loop: Header=BB4_77 Depth=1
	v_add_nc_u64_e32 v[8:9], 1, v[8:9]
	global_wb scope:SCOPE_SYS
	s_wait_storecnt 0x0
	s_wait_loadcnt_dscnt 0x0
	flat_store_b64 v[20:21], v[8:9] scope:SCOPE_SYS
	s_branch .LBB4_76
.LBB4_1003:
	s_or_b32 exec_lo, exec_lo, s25
.LBB4_1004:
	s_delay_alu instid0(SALU_CYCLE_1) | instskip(SKIP_2) | instid1(VALU_DEP_1)
	s_or_b32 exec_lo, exec_lo, s24
	v_and_b32_e32 v0, 0x800, v114
	s_mov_b32 s1, exec_lo
	v_cmpx_eq_u32_e32 0, v0
	s_cbranch_execz .LBB4_1037
; %bb.1005:
	v_and_b32_e32 v0, 48, v114
	s_mov_b32 s0, exec_lo
	s_delay_alu instid0(VALU_DEP_1)
	v_cmpx_ne_u32_e32 0, v0
	s_cbranch_execz .LBB4_1007
; %bb.1006:
	s_wait_dscnt 0x0
	flat_store_b64 v[18:19], v[8:9] offset:104
.LBB4_1007:
	s_wait_xcnt 0x0
	s_or_b32 exec_lo, exec_lo, s0
	v_and_b32_e32 v0, 0x88, v114
	s_mov_b32 s2, exec_lo
	s_delay_alu instid0(VALU_DEP_1)
	v_cmpx_eq_u32_e32 0x88, v0
	s_cbranch_execz .LBB4_1017
; %bb.1008:
	s_wait_dscnt 0x0
	v_dual_add_nc_u32 v0, -1, v8 :: v_dual_bitop2_b32 v4, 64, v114 bitop3:0x40
	s_mov_b32 s3, 0
	s_delay_alu instid0(VALU_DEP_1) | instskip(NEXT) | instid1(VALU_DEP_2)
	v_and_b32_e32 v0, 7, v0
	v_cmp_eq_u32_e64 s0, 0, v4
	s_delay_alu instid0(VALU_DEP_2)
	v_mad_nc_u64_u32 v[0:1], v0, 24, v[6:7]
	flat_load_b64 v[2:3], v[0:1] offset:8 scope:SCOPE_SYS
	s_wait_loadcnt_dscnt 0x0
	v_cmp_ne_u64_e32 vcc_lo, -1, v[2:3]
	s_and_b32 s0, vcc_lo, s0
	s_wait_xcnt 0x0
	s_and_b32 exec_lo, exec_lo, s0
	s_cbranch_execz .LBB4_1017
; %bb.1009:
	s_mov_b32 s5, 0
                                        ; implicit-def: $sgpr0
                                        ; implicit-def: $sgpr4
	s_branch .LBB4_1012
.LBB4_1010:                             ;   in Loop: Header=BB4_1012 Depth=1
	flat_load_b64 v[4:5], v[0:1] offset:8 scope:SCOPE_SYS
	s_wait_loadcnt 0x0
	s_and_not1_b32 s4, s4, exec_lo
	s_wait_dscnt 0x0
	v_cmp_eq_u64_e32 vcc_lo, -1, v[4:5]
	s_or_not1_b32 s7, vcc_lo, exec_lo
.LBB4_1011:                             ;   in Loop: Header=BB4_1012 Depth=1
	s_wait_xcnt 0x0
	s_or_b32 exec_lo, exec_lo, s10
	s_delay_alu instid0(SALU_CYCLE_1) | instskip(NEXT) | instid1(SALU_CYCLE_1)
	s_and_b32 s6, exec_lo, s7
	s_or_b32 s3, s6, s3
	s_and_not1_b32 s0, s0, exec_lo
	s_and_b32 s6, s4, exec_lo
	s_delay_alu instid0(SALU_CYCLE_1)
	s_or_b32 s0, s0, s6
	s_and_not1_b32 exec_lo, exec_lo, s3
	s_cbranch_execz .LBB4_1015
.LBB4_1012:                             ; =>This Inner Loop Header: Depth=1
	s_cmp_lt_i32 s5, 0x270f
	s_cselect_b32 s6, -1, 0
	s_delay_alu instid0(SALU_CYCLE_1)
	s_and_b32 vcc_lo, exec_lo, s6
	s_cbranch_vccnz .LBB4_1014
; %bb.1013:                             ;   in Loop: Header=BB4_1012 Depth=1
	s_trap 2
	ds_load_b64 v[2:3], v0
	s_and_not1_b32 s6, s6, exec_lo
	s_mov_b32 s5, 0
	s_wait_storecnt_dscnt 0x0
	flat_load_b32 v2, v[2:3] scope:SCOPE_SYS
	s_wait_loadcnt_dscnt 0x0
	global_inv scope:SCOPE_SYS
	v_cmp_eq_u32_e32 vcc_lo, 0, v2
	s_and_b32 s7, vcc_lo, exec_lo
	s_delay_alu instid0(SALU_CYCLE_1)
	s_or_b32 s6, s6, s7
	s_mov_b32 s7, -1
	s_or_b32 s4, s4, exec_lo
	s_wait_xcnt 0x0
	s_and_saveexec_b32 s10, s6
	s_cbranch_execz .LBB4_1011
	s_branch .LBB4_1010
.LBB4_1014:                             ;   in Loop: Header=BB4_1012 Depth=1
	s_add_co_i32 s5, s5, 1
                                        ; implicit-def: $vgpr2
	s_mov_b32 s7, -1
	s_or_b32 s4, s4, exec_lo
	s_and_saveexec_b32 s10, s6
	s_cbranch_execz .LBB4_1011
	s_branch .LBB4_1010
.LBB4_1015:
	s_or_b32 exec_lo, exec_lo, s3
	s_and_saveexec_b32 s3, s0
	s_delay_alu instid0(SALU_CYCLE_1)
	s_xor_b32 s3, exec_lo, s3
	s_cbranch_execz .LBB4_1017
; %bb.1016:
	s_wait_loadcnt 0x0
	s_wait_storecnt 0x0
	ds_store_b32 v0, v2
	s_trap 2
.LBB4_1017:
	s_or_b32 exec_lo, exec_lo, s2
	v_and_b32_e32 v0, 0x2000, v114
	s_mov_b32 s0, exec_lo
	s_delay_alu instid0(VALU_DEP_1)
	v_cmpx_ne_u32_e32 0, v0
	s_cbranch_execz .LBB4_1019
; %bb.1018:
	ds_load_b64 v[0:1], v0 offset:872
	s_wait_dscnt 0x0
	flat_store_b64 v[16:17], v[0:1] offset:16
.LBB4_1019:
	s_wait_xcnt 0x0
	s_or_b32 exec_lo, exec_lo, s0
	v_cmp_ne_u32_e32 vcc_lo, 32, v30
	s_and_b32 exec_lo, exec_lo, vcc_lo
	s_cbranch_execz .LBB4_1037
; %bb.1020:
	s_mov_b32 s0, exec_lo
	v_cmpx_ne_u32_e64 v30, v115
	s_xor_b32 s0, exec_lo, s0
	s_cbranch_execz .LBB4_1035
; %bb.1021:
	v_and_b32_e32 v0, 31, v31
	s_mov_b32 s2, exec_lo
	s_delay_alu instid0(VALU_DEP_1)
	v_cmpx_eq_u32_e32 0, v0
	s_cbranch_execz .LBB4_1034
; %bb.1022:
	s_mov_b32 s4, exec_lo
	s_mov_b32 s3, exec_lo
	v_mbcnt_lo_u32_b32 v0, s4, 0
	global_wb scope:SCOPE_DEV
	s_wait_storecnt 0x0
	s_wait_loadcnt_dscnt 0x0
	global_inv scope:SCOPE_DEV
	v_cmpx_eq_u32_e32 0, v0
	s_cbranch_execz .LBB4_1024
; %bb.1023:
	s_bcnt1_i32_b32 s4, s4
	s_delay_alu instid0(SALU_CYCLE_1)
	v_dual_mov_b32 v1, 0 :: v_dual_mov_b32 v0, s4
	s_wait_loadcnt 0x0
	ds_add_u64 v0, v[0:1]
	s_trap 2
.LBB4_1024:
	s_or_b32 exec_lo, exec_lo, s3
	s_trap 2
	ds_load_b64 v[2:3], v0
	s_wait_dscnt 0x0
	v_dual_mov_b32 v1, 0 :: v_dual_lshrrev_b32 v0, 5, v30
	s_mov_b32 s3, exec_lo
	s_delay_alu instid0(VALU_DEP_1) | instskip(NEXT) | instid1(VALU_DEP_1)
	v_add_nc_u64_e32 v[0:1], v[26:27], v[0:1]
	v_cmpx_lt_u64_e64 v[2:3], v[0:1]
	s_cbranch_execz .LBB4_1033
; %bb.1025:
	s_mov_b32 s4, 0
	s_mov_b32 s7, 0
                                        ; implicit-def: $sgpr5
                                        ; implicit-def: $sgpr6
	s_branch .LBB4_1027
.LBB4_1026:                             ;   in Loop: Header=BB4_1027 Depth=1
	s_or_b32 exec_lo, exec_lo, s11
	s_delay_alu instid0(SALU_CYCLE_1) | instskip(NEXT) | instid1(SALU_CYCLE_1)
	s_and_b32 s10, exec_lo, s12
	s_or_b32 s4, s10, s4
	s_and_not1_b32 s5, s5, exec_lo
	s_and_b32 s10, s6, exec_lo
	s_delay_alu instid0(SALU_CYCLE_1)
	s_or_b32 s5, s5, s10
	s_and_not1_b32 exec_lo, exec_lo, s4
	s_cbranch_execz .LBB4_1031
.LBB4_1027:                             ; =>This Inner Loop Header: Depth=1
	s_add_co_i32 s7, s7, 1
	s_delay_alu instid0(SALU_CYCLE_1) | instskip(SKIP_1) | instid1(SALU_CYCLE_1)
	s_cmp_lg_u32 s7, 0x2710
	s_cselect_b32 s10, -1, 0
	s_and_b32 vcc_lo, exec_lo, s10
	s_cbranch_vccz .LBB4_1029
; %bb.1028:                             ;   in Loop: Header=BB4_1027 Depth=1
	s_mov_b32 s12, -1
	s_or_b32 s6, s6, exec_lo
	s_and_saveexec_b32 s11, s10
	s_cbranch_execz .LBB4_1026
	s_branch .LBB4_1030
.LBB4_1029:                             ;   in Loop: Header=BB4_1027 Depth=1
	s_trap 2
	ds_load_b64 v[2:3], v0
	s_and_not1_b32 s10, s10, exec_lo
	s_mov_b32 s7, 0
	s_wait_loadcnt_dscnt 0x0
	flat_load_b32 v2, v[2:3] scope:SCOPE_SYS
	s_wait_loadcnt_dscnt 0x0
	global_inv scope:SCOPE_SYS
	v_cmp_eq_u32_e32 vcc_lo, 0, v2
	s_and_b32 s11, vcc_lo, exec_lo
	s_delay_alu instid0(SALU_CYCLE_1)
	s_or_b32 s10, s10, s11
	s_mov_b32 s12, -1
	s_or_b32 s6, s6, exec_lo
	s_and_saveexec_b32 s11, s10
	s_cbranch_execz .LBB4_1026
.LBB4_1030:                             ;   in Loop: Header=BB4_1027 Depth=1
	s_sleep 1
	s_trap 2
	ds_load_b64 v[2:3], v0
	s_wait_dscnt 0x0
	s_and_not1_b32 s6, s6, exec_lo
	v_cmp_ge_u64_e32 vcc_lo, v[2:3], v[0:1]
	s_or_not1_b32 s12, vcc_lo, exec_lo
	s_branch .LBB4_1026
.LBB4_1031:
	s_or_b32 exec_lo, exec_lo, s4
	s_and_saveexec_b32 s4, s5
	s_delay_alu instid0(SALU_CYCLE_1)
	s_xor_b32 s4, exec_lo, s4
	s_cbranch_execz .LBB4_1033
; %bb.1032:
	v_mov_b32_e32 v0, 1
	ds_store_b32 v0, v0
	s_trap 2
.LBB4_1033:
	s_or_b32 exec_lo, exec_lo, s3
	;;#ASMSTART
	s_wakeup
	;;#ASMEND
.LBB4_1034:
	s_or_b32 exec_lo, exec_lo, s2
.LBB4_1035:
	s_and_not1_saveexec_b32 s0, s0
	s_cbranch_execz .LBB4_1037
; %bb.1036:
	global_wb scope:SCOPE_DEV
	s_wait_storecnt 0x0
	s_wait_loadcnt_dscnt 0x0
	global_inv scope:SCOPE_DEV
	s_barrier_signal -1
	s_barrier_wait -1
.LBB4_1037:
	s_or_b32 exec_lo, exec_lo, s1
.LBB4_1038:
	s_and_not1_saveexec_b32 s21, s23
	s_cbranch_execz .LBB4_1040
; %bb.1039:
	s_get_pc_i64 s[0:1]
	s_add_nc_u64 s[0:1], s[0:1], __PRETTY_FUNCTION__._ZN10PrimitivesIa7FuncSumIaE12FanSymmetricILi1EELi0E11ProtoSimpleILi1ELi1ELi0ELi1ELi0ELi0EELi0ELb0ELi0ELi0ELi0EEC2EiiPKiS8_PKvPvmhhhP15ncclDevWorkCollP14ncclDevWorkP2pii@rel64+4
	s_get_pc_i64 s[2:3]
	s_add_nc_u64 s[2:3], s[2:3], __assert_fail@rel64+4
	v_dual_mov_b32 v0, s0 :: v_dual_mov_b32 v1, s1
	s_swap_pc_i64 s[30:31], s[2:3]
	; divergent unreachable
.LBB4_1040:
	s_or_b32 exec_lo, exec_lo, s21
.LBB4_1041:
	s_delay_alu instid0(SALU_CYCLE_1)
	s_or_b32 exec_lo, exec_lo, s22
	s_clause 0xd
	scratch_load_b32 v61, off, s33
	scratch_load_b32 v60, off, s33 offset:4
	scratch_load_b32 v59, off, s33 offset:8
	;; [unrolled: 1-line block ×13, first 2 shown]
	v_readlane_b32 s30, v62, 0
	v_readlane_b32 s31, v62, 1
	s_mov_b32 s32, s33
	s_wait_xcnt 0x0
	s_or_saveexec_b32 s0, -1
	scratch_load_b32 v62, off, s33 offset:56 ; 4-byte Folded Reload
	s_wait_xcnt 0x0
	s_mov_b32 exec_lo, s0
	s_mov_b32 s33, s60
	s_wait_loadcnt_dscnt 0x0
	s_set_pc_i64 s[30:31]
.Lfunc_end4:
	.size	_ZN12_GLOBAL__N_17runRingIa7FuncSumIaE11ProtoSimpleILi1ELi1ELi0ELi1ELi0ELi0EELi0ELi1ELi0EEEviiP15ncclDevWorkColl, .Lfunc_end4-_ZN12_GLOBAL__N_17runRingIa7FuncSumIaE11ProtoSimpleILi1ELi1ELi0ELi1ELi0ELi0EELi0ELi1ELi0EEEviiP15ncclDevWorkColl
                                        ; -- End function
	.set .L_ZN12_GLOBAL__N_17runRingIa7FuncSumIaE11ProtoSimpleILi1ELi1ELi0ELi1ELi0ELi0EELi0ELi1ELi0EEEviiP15ncclDevWorkColl.num_vgpr, max(120, .L__assert_fail.num_vgpr)
	.set .L_ZN12_GLOBAL__N_17runRingIa7FuncSumIaE11ProtoSimpleILi1ELi1ELi0ELi1ELi0ELi0EELi0ELi1ELi0EEEviiP15ncclDevWorkColl.num_agpr, max(0, .L__assert_fail.num_agpr)
	.set .L_ZN12_GLOBAL__N_17runRingIa7FuncSumIaE11ProtoSimpleILi1ELi1ELi0ELi1ELi0ELi0EELi0ELi1ELi0EEEviiP15ncclDevWorkColl.numbered_sgpr, max(61, .L__assert_fail.numbered_sgpr)
	.set .L_ZN12_GLOBAL__N_17runRingIa7FuncSumIaE11ProtoSimpleILi1ELi1ELi0ELi1ELi0ELi0EELi0ELi1ELi0EEEviiP15ncclDevWorkColl.num_named_barrier, max(0, .L__assert_fail.num_named_barrier)
	.set .L_ZN12_GLOBAL__N_17runRingIa7FuncSumIaE11ProtoSimpleILi1ELi1ELi0ELi1ELi0ELi0EELi0ELi1ELi0EEEviiP15ncclDevWorkColl.private_seg_size, 64+max(.L__assert_fail.private_seg_size)
	.set .L_ZN12_GLOBAL__N_17runRingIa7FuncSumIaE11ProtoSimpleILi1ELi1ELi0ELi1ELi0ELi0EELi0ELi1ELi0EEEviiP15ncclDevWorkColl.uses_vcc, or(1, .L__assert_fail.uses_vcc)
	.set .L_ZN12_GLOBAL__N_17runRingIa7FuncSumIaE11ProtoSimpleILi1ELi1ELi0ELi1ELi0ELi0EELi0ELi1ELi0EEEviiP15ncclDevWorkColl.uses_flat_scratch, or(1, .L__assert_fail.uses_flat_scratch)
	.set .L_ZN12_GLOBAL__N_17runRingIa7FuncSumIaE11ProtoSimpleILi1ELi1ELi0ELi1ELi0ELi0EELi0ELi1ELi0EEEviiP15ncclDevWorkColl.has_dyn_sized_stack, or(0, .L__assert_fail.has_dyn_sized_stack)
	.set .L_ZN12_GLOBAL__N_17runRingIa7FuncSumIaE11ProtoSimpleILi1ELi1ELi0ELi1ELi0ELi0EELi0ELi1ELi0EEEviiP15ncclDevWorkColl.has_recursion, or(1, .L__assert_fail.has_recursion)
	.set .L_ZN12_GLOBAL__N_17runRingIa7FuncSumIaE11ProtoSimpleILi1ELi1ELi0ELi1ELi0ELi0EELi0ELi1ELi0EEEviiP15ncclDevWorkColl.has_indirect_call, or(0, .L__assert_fail.has_indirect_call)
	.section	.AMDGPU.csdata,"",@progbits
; Function info:
; codeLenInByte = 34632
; TotalNumSgprs: 63
; NumVgprs: 120
; ScratchSize: 128
; MemoryBound: 1
	.text
	.p2align	2                               ; -- Begin function _Z46ncclDevFunc_Broadcast_RING_SIMPLE_Sum_i8_0_0_1v
	.type	_Z46ncclDevFunc_Broadcast_RING_SIMPLE_Sum_i8_0_0_1v,@function
_Z46ncclDevFunc_Broadcast_RING_SIMPLE_Sum_i8_0_0_1v: ; @_Z46ncclDevFunc_Broadcast_RING_SIMPLE_Sum_i8_0_0_1v
; %bb.0:
	s_wait_loadcnt_dscnt 0x0
	s_wait_kmcnt 0x0
	s_mov_b32 s76, s33
	s_mov_b32 s33, s32
	s_or_saveexec_b32 s0, -1
	scratch_store_b32 off, v42, s33 offset:12 ; 4-byte Folded Spill
	s_wait_xcnt 0x0
	s_mov_b32 exec_lo, s0
	s_add_co_i32 s32, s32, 32
	s_clause 0x2
	scratch_store_b32 off, v40, s33 offset:8
	; meta instruction
	scratch_store_b32 off, v41, s33 offset:4
	; meta instruction
	scratch_store_b32 off, v62, s33
	v_writelane_b32 v42, s30, 0
	v_writelane_b32 v42, s31, 1
	s_trap 2
	ds_load_b32 v0, v0
	s_wait_xcnt 0x2
	v_mov_b32_e32 v40, v31
	s_wait_dscnt 0x0
	v_cmp_gt_i32_e32 vcc_lo, 1, v0
	s_cbranch_vccnz .LBB5_8
; %bb.1:
	s_wait_xcnt 0x1
	v_and_b32_e32 v41, 0x3ff, v40
	s_mov_b32 s61, s12
	s_mov_b64 s[62:63], s[8:9]
	s_mov_b32 s74, 0
	s_get_pc_i64 s[72:73]
	s_add_nc_u64 s[72:73], s[72:73], _ZN12_GLOBAL__N_17runRingIa7FuncSumIaE11ProtoSimpleILi1ELi1ELi0ELi1ELi0ELi0EELi0ELi1ELi0EEEviiP15ncclDevWorkColl@rel64+4
	s_branch .LBB5_3
.LBB5_2:                                ;   in Loop: Header=BB5_3 Depth=1
	s_or_b32 exec_lo, exec_lo, s75
	s_trap 2
	ds_load_b32 v0, v0
	s_add_co_i32 s74, s74, 1
	s_wait_dscnt 0x0
	v_cmp_lt_i32_e32 vcc_lo, s74, v0
	s_cbranch_vccz .LBB5_8
.LBB5_3:                                ; =>This Inner Loop Header: Depth=1
	s_trap 2
	ds_load_b32 v0, v0
	s_cmp_eq_u32 s74, 0
	s_cbranch_scc1 .LBB5_6
; %bb.4:                                ;   in Loop: Header=BB5_3 Depth=1
	s_trap 2
	s_wait_dscnt 0x0
	ds_load_b32 v1, v0
	s_wait_dscnt 0x0
	v_xor_b32_e32 v1, v1, v0
	s_delay_alu instid0(VALU_DEP_1) | instskip(NEXT) | instid1(VALU_DEP_1)
	v_and_b32_e32 v1, 0xff0000, v1
	v_cmp_eq_u32_e32 vcc_lo, 0, v1
	s_cbranch_vccnz .LBB5_6
; %bb.5:                                ;   in Loop: Header=BB5_3 Depth=1
	s_wait_storecnt 0x0
	s_barrier_signal -1
	s_barrier_wait -1
	ds_load_b32 v0, v0
.LBB5_6:                                ;   in Loop: Header=BB5_3 Depth=1
	s_wait_dscnt 0x0
	v_lshrrev_b32_e32 v0, 11, v0
	s_mov_b32 s75, exec_lo
	s_delay_alu instid0(VALU_DEP_1) | instskip(SKIP_1) | instid1(VALU_DEP_1)
	v_and_b32_e32 v1, 0x1fe0, v0
	s_wait_xcnt 0x0
	v_cmpx_lt_u32_e64 v41, v1
	s_cbranch_execz .LBB5_2
; %bb.7:                                ;   in Loop: Header=BB5_3 Depth=1
	s_mov_b64 s[0:1], src_shared_base
	v_dual_mov_b32 v31, v40 :: v_dual_mov_b32 v0, v41
	v_mov_b32_e32 v3, s1
	s_mov_b64 s[8:9], s[62:63]
	s_mov_b32 s12, s61
	s_swap_pc_i64 s[30:31], s[72:73]
	s_branch .LBB5_2
.LBB5_8:
	s_clause 0x2
	scratch_load_b32 v62, off, s33
	scratch_load_b32 v41, off, s33 offset:4
	scratch_load_b32 v40, off, s33 offset:8
	v_readlane_b32 s30, v42, 0
	v_readlane_b32 s31, v42, 1
	s_mov_b32 s32, s33
	s_wait_xcnt 0x0
	s_or_saveexec_b32 s0, -1
	scratch_load_b32 v42, off, s33 offset:12 ; 4-byte Folded Reload
	s_wait_xcnt 0x0
	s_mov_b32 exec_lo, s0
	s_mov_b32 s33, s76
	s_wait_loadcnt 0x0
	s_set_pc_i64 s[30:31]
.Lfunc_end5:
	.size	_Z46ncclDevFunc_Broadcast_RING_SIMPLE_Sum_i8_0_0_1v, .Lfunc_end5-_Z46ncclDevFunc_Broadcast_RING_SIMPLE_Sum_i8_0_0_1v
                                        ; -- End function
	.set .L_Z46ncclDevFunc_Broadcast_RING_SIMPLE_Sum_i8_0_0_1v.num_vgpr, max(63, .L_ZN12_GLOBAL__N_17runRingIa7FuncSumIaE11ProtoSimpleILi1ELi1ELi0ELi1ELi0ELi0EELi0ELi1ELi0EEEviiP15ncclDevWorkColl.num_vgpr)
	.set .L_Z46ncclDevFunc_Broadcast_RING_SIMPLE_Sum_i8_0_0_1v.num_agpr, max(0, .L_ZN12_GLOBAL__N_17runRingIa7FuncSumIaE11ProtoSimpleILi1ELi1ELi0ELi1ELi0ELi0EELi0ELi1ELi0EEEviiP15ncclDevWorkColl.num_agpr)
	.set .L_Z46ncclDevFunc_Broadcast_RING_SIMPLE_Sum_i8_0_0_1v.numbered_sgpr, max(77, .L_ZN12_GLOBAL__N_17runRingIa7FuncSumIaE11ProtoSimpleILi1ELi1ELi0ELi1ELi0ELi0EELi0ELi1ELi0EEEviiP15ncclDevWorkColl.numbered_sgpr)
	.set .L_Z46ncclDevFunc_Broadcast_RING_SIMPLE_Sum_i8_0_0_1v.num_named_barrier, max(0, .L_ZN12_GLOBAL__N_17runRingIa7FuncSumIaE11ProtoSimpleILi1ELi1ELi0ELi1ELi0ELi0EELi0ELi1ELi0EEEviiP15ncclDevWorkColl.num_named_barrier)
	.set .L_Z46ncclDevFunc_Broadcast_RING_SIMPLE_Sum_i8_0_0_1v.private_seg_size, 32+max(.L_ZN12_GLOBAL__N_17runRingIa7FuncSumIaE11ProtoSimpleILi1ELi1ELi0ELi1ELi0ELi0EELi0ELi1ELi0EEEviiP15ncclDevWorkColl.private_seg_size)
	.set .L_Z46ncclDevFunc_Broadcast_RING_SIMPLE_Sum_i8_0_0_1v.uses_vcc, or(1, .L_ZN12_GLOBAL__N_17runRingIa7FuncSumIaE11ProtoSimpleILi1ELi1ELi0ELi1ELi0ELi0EELi0ELi1ELi0EEEviiP15ncclDevWorkColl.uses_vcc)
	.set .L_Z46ncclDevFunc_Broadcast_RING_SIMPLE_Sum_i8_0_0_1v.uses_flat_scratch, or(1, .L_ZN12_GLOBAL__N_17runRingIa7FuncSumIaE11ProtoSimpleILi1ELi1ELi0ELi1ELi0ELi0EELi0ELi1ELi0EEEviiP15ncclDevWorkColl.uses_flat_scratch)
	.set .L_Z46ncclDevFunc_Broadcast_RING_SIMPLE_Sum_i8_0_0_1v.has_dyn_sized_stack, or(0, .L_ZN12_GLOBAL__N_17runRingIa7FuncSumIaE11ProtoSimpleILi1ELi1ELi0ELi1ELi0ELi0EELi0ELi1ELi0EEEviiP15ncclDevWorkColl.has_dyn_sized_stack)
	.set .L_Z46ncclDevFunc_Broadcast_RING_SIMPLE_Sum_i8_0_0_1v.has_recursion, or(1, .L_ZN12_GLOBAL__N_17runRingIa7FuncSumIaE11ProtoSimpleILi1ELi1ELi0ELi1ELi0ELi0EELi0ELi1ELi0EEEviiP15ncclDevWorkColl.has_recursion)
	.set .L_Z46ncclDevFunc_Broadcast_RING_SIMPLE_Sum_i8_0_0_1v.has_indirect_call, or(0, .L_ZN12_GLOBAL__N_17runRingIa7FuncSumIaE11ProtoSimpleILi1ELi1ELi0ELi1ELi0ELi0EELi0ELi1ELi0EEEviiP15ncclDevWorkColl.has_indirect_call)
	.section	.AMDGPU.csdata,"",@progbits
; Function info:
; codeLenInByte = 464
; TotalNumSgprs: 79
; NumVgprs: 120
; ScratchSize: 160
; MemoryBound: 0
	.text
	.p2align	2                               ; -- Begin function _ZN12_GLOBAL__N_17runRingIa7FuncSumIaE7ProtoLLLi0ELi2ELi0EEEviiP15ncclDevWorkColl
	.type	_ZN12_GLOBAL__N_17runRingIa7FuncSumIaE7ProtoLLLi0ELi2ELi0EEEviiP15ncclDevWorkColl,@function
_ZN12_GLOBAL__N_17runRingIa7FuncSumIaE7ProtoLLLi0ELi2ELi0EEEviiP15ncclDevWorkColl: ; @_ZN12_GLOBAL__N_17runRingIa7FuncSumIaE7ProtoLLLi0ELi2ELi0EEEviiP15ncclDevWorkColl
; %bb.0:
	s_wait_loadcnt_dscnt 0x0
	s_wait_kmcnt 0x0
	s_trap 2
	ds_load_b64 v[4:5], v0
	s_clause 0x1
	flat_load_b64 v[16:17], v[2:3]
	flat_load_u16 v9, v[2:3] offset:8
	ds_load_b32 v6, v0
	s_mov_b32 s0, exec_lo
                                        ; implicit-def: $vgpr48_vgpr49
                                        ; implicit-def: $vgpr14_vgpr15
	s_wait_dscnt 0x3
	flat_load_b64 v[50:51], v[4:5]
                                        ; implicit-def: $vgpr4_vgpr5
	s_wait_loadcnt_dscnt 0x203
	v_and_b32_e32 v7, 0xff, v16
	v_mov_b32_e32 v8, v17
	s_wait_dscnt 0x1
	s_wait_xcnt 0x0
	s_delay_alu instid0(VALU_DEP_2)
	v_cmpx_ne_u32_e64 v6, v7
	s_xor_b32 s0, exec_lo, s0
	s_cbranch_execz .LBB6_6
; %bb.1:
	v_bfe_u32 v11, v16, 8, 8
	v_not_b32_e32 v10, v7
	s_mov_b32 s1, exec_lo
                                        ; implicit-def: $vgpr48_vgpr49
                                        ; implicit-def: $vgpr4_vgpr5
                                        ; implicit-def: $vgpr14_vgpr15
	s_delay_alu instid0(VALU_DEP_2)
	v_cmpx_ne_u32_e64 v6, v11
	s_xor_b32 s1, exec_lo, s1
	s_cbranch_execz .LBB6_3
; %bb.2:
	s_clause 0x1
	flat_load_b128 v[18:21], v[2:3] offset:72
	flat_load_b64 v[4:5], v[2:3] offset:96
	v_add_nc_u32_e32 v6, v6, v10
                                        ; implicit-def: $vgpr11
                                        ; implicit-def: $vgpr10
	s_wait_loadcnt_dscnt 0x101
	s_delay_alu instid0(VALU_DEP_1) | instskip(SKIP_3) | instid1(VALU_DEP_3)
	v_mad_nc_u64_u32 v[14:15], v20, v6, v[18:19]
	s_wait_loadcnt_dscnt 0x0
	v_lshrrev_b64 v[48:49], 21, v[4:5]
	v_mov_b64_e32 v[4:5], v[20:21]
	v_mad_u32 v7, v21, v6, v15
	v_ashrrev_i32_e32 v6, 31, v6
	s_delay_alu instid0(VALU_DEP_1)
	v_mad_u32 v15, v20, v6, v7
.LBB6_3:
	s_wait_xcnt 0x0
	s_and_not1_saveexec_b32 s1, s1
	s_cbranch_execz .LBB6_5
; %bb.4:
	s_clause 0x1
	flat_load_b128 v[18:21], v[2:3] offset:72
	flat_load_b128 v[4:7], v[2:3] offset:88
	s_wait_loadcnt_dscnt 0x0
	v_dual_add_nc_u32 v6, v11, v10 :: v_dual_lshrrev_b32 v48, 10, v7
	s_delay_alu instid0(VALU_DEP_1) | instskip(NEXT) | instid1(VALU_DEP_1)
	v_mad_nc_u64_u32 v[14:15], v20, v6, v[18:19]
	v_mad_u32 v10, v21, v6, v15
	v_ashrrev_i32_e32 v6, 31, v6
	s_delay_alu instid0(VALU_DEP_1)
	v_mad_u32 v15, v20, v6, v10
.LBB6_5:
	s_wait_xcnt 0x0
	s_or_b32 exec_lo, exec_lo, s1
.LBB6_6:
	s_and_not1_saveexec_b32 s0, s0
	s_cbranch_execz .LBB6_8
; %bb.7:
	s_clause 0x1
	flat_load_b64 v[4:5], v[2:3] offset:72
	flat_load_b64 v[48:49], v[2:3] offset:96
	v_mov_b64_e32 v[14:15], 0
.LBB6_8:
	s_wait_xcnt 0x0
	s_or_b32 exec_lo, exec_lo, s0
	flat_load_b128 v[10:13], v[2:3] offset:16
	s_wait_xcnt 0x0
	v_and_b32_e32 v2, 0x44000000, v16
	v_bfe_u32 v3, v8, 1, 30
	s_mov_b32 s0, exec_lo
	s_delay_alu instid0(VALU_DEP_2) | instskip(NEXT) | instid1(VALU_DEP_1)
	v_cmp_eq_u32_e64 s10, 0x44000000, v2
	v_cndmask_b32_e64 v2, v1, 32, s10
	s_delay_alu instid0(VALU_DEP_1)
	v_cmpx_ge_i32_e64 v0, v2
	s_xor_b32 s1, exec_lo, s0
	s_cbranch_execnz .LBB6_11
; %bb.9:
	s_and_not1_saveexec_b32 s11, s1
	s_cbranch_execnz .LBB6_40
.LBB6_10:
	s_or_b32 exec_lo, exec_lo, s11
	s_wait_loadcnt_dscnt 0x0
	s_set_pc_i64 s[30:31]
.LBB6_11:
	s_wait_loadcnt_dscnt 0x0
	v_cmp_ne_u64_e32 vcc_lo, v[12:13], v[10:11]
	v_cmp_eq_u32_e64 s0, v50, v3
	s_and_b32 s2, vcc_lo, s0
	s_delay_alu instid0(SALU_CYCLE_1)
	s_and_saveexec_b32 s0, s2
	s_cbranch_execz .LBB6_39
; %bb.12:
	v_sub_nc_u32_e32 v27, v0, v2
	v_add_nc_u64_e32 v[8:9], v[12:13], v[14:15]
	v_add_nc_u64_e32 v[16:17], v[10:11], v[14:15]
	s_mov_b32 s2, 0
	s_mov_b32 s3, exec_lo
	v_ashrrev_i16 v0, 15, v27
	s_delay_alu instid0(VALU_DEP_1) | instskip(NEXT) | instid1(VALU_DEP_1)
	v_lshrrev_b16 v0, 11, v0
	v_add_nc_u16 v0, v27, v0
	s_delay_alu instid0(VALU_DEP_1) | instskip(NEXT) | instid1(VALU_DEP_1)
	v_and_b32_e32 v3, 0xffffffe0, v0
	v_sub_nc_u16 v3, v27, v3
	s_delay_alu instid0(VALU_DEP_1)
	v_cmpx_gt_i16_e32 1, v3
; %bb.13:
	v_bitop3_b32 v6, v8, 15, v16 bitop3:0xc8
	s_delay_alu instid0(VALU_DEP_1)
	v_cmp_ne_u32_e32 vcc_lo, 0, v6
	s_and_b32 s2, vcc_lo, exec_lo
; %bb.14:
	s_or_b32 exec_lo, exec_lo, s3
	v_cndmask_b32_e64 v6, 0, 1, s2
	v_sub_nc_u32_e32 v26, v1, v2
	s_delay_alu instid0(VALU_DEP_2)
	v_cmp_ne_u32_e32 vcc_lo, 0, v6
	s_cbranch_vccz .LBB6_16
; %bb.15:
	v_mov_b64_e32 v[0:1], 0
	s_mov_b32 s3, -1
	s_delay_alu instid0(SALU_CYCLE_1)
	s_and_b32 exec_lo, exec_lo, s3
	s_cbranch_execnz .LBB6_31
	s_branch .LBB6_39
.LBB6_16:
	v_dual_ashrrev_i32 v1, 31, v5 :: v_dual_mov_b32 v7, 0
	v_ashrrev_i16 v2, 5, v0
	v_bfe_i32 v22, v3, 0, 16
	s_mov_b32 s3, 0
	s_mov_b32 s2, exec_lo
	s_delay_alu instid0(VALU_DEP_2) | instskip(NEXT) | instid1(VALU_DEP_1)
	v_bfe_i32 v18, v2, 0, 16
	v_dual_lshrrev_b32 v6, 21, v1 :: v_dual_ashrrev_i32 v19, 31, v18
	s_delay_alu instid0(VALU_DEP_1) | instskip(NEXT) | instid1(VALU_DEP_1)
	v_add_nc_u64_e32 v[0:1], v[4:5], v[6:7]
	v_ashrrev_i64 v[0:1], 11, v[0:1]
	s_delay_alu instid0(VALU_DEP_1) | instskip(NEXT) | instid1(VALU_DEP_1)
	v_sub_nc_u64_e32 v[6:7], v[0:1], v[18:19]
	v_cmpx_lt_i64_e32 0, v[6:7]
	s_cbranch_execz .LBB6_20
; %bb.17:
	v_ashrrev_i16 v2, 15, v26
	s_delay_alu instid0(VALU_DEP_1) | instskip(NEXT) | instid1(VALU_DEP_1)
	v_lshrrev_b16 v2, 11, v2
	v_add_nc_u16 v2, v26, v2
	s_delay_alu instid0(VALU_DEP_1) | instskip(NEXT) | instid1(VALU_DEP_1)
	v_ashrrev_i16 v2, 5, v2
	v_bfe_i32 v2, v2, 0, 16
	s_delay_alu instid0(VALU_DEP_1) | instskip(NEXT) | instid1(VALU_DEP_1)
	v_lshlrev_b32_e32 v20, 11, v2
	v_dual_lshlrev_b32 v3, 4, v22 :: v_dual_ashrrev_i32 v21, 31, v20
	s_delay_alu instid0(VALU_DEP_1) | instskip(SKIP_1) | instid1(VALU_DEP_2)
	v_lshl_add_u32 v18, v18, 11, v3
	v_ashrrev_i32_e32 v3, 31, v2
	v_ashrrev_i32_e32 v19, 31, v18
.LBB6_18:                               ; =>This Inner Loop Header: Depth=1
	s_delay_alu instid0(VALU_DEP_1) | instskip(NEXT) | instid1(VALU_DEP_3)
	v_add_nc_u64_e32 v[24:25], v[18:19], v[8:9]
	v_sub_nc_u64_e32 v[6:7], v[6:7], v[2:3]
	v_add_nc_u64_e32 v[8:9], v[8:9], v[20:21]
	s_clause 0x3
	global_load_b128 v[28:31], v[24:25], off th:TH_LOAD_NT
	global_load_b128 v[32:35], v[24:25], off offset:512 th:TH_LOAD_NT
	global_load_b128 v[36:39], v[24:25], off offset:1024 th:TH_LOAD_NT
	;; [unrolled: 1-line block ×3, first 2 shown]
	v_cmp_gt_i64_e32 vcc_lo, 1, v[6:7]
	s_wait_xcnt 0x0
	v_add_nc_u64_e32 v[24:25], v[18:19], v[16:17]
	v_add_nc_u64_e32 v[16:17], v[16:17], v[20:21]
	s_wait_loadcnt 0x3
	global_store_b128 v[24:25], v[28:31], off th:TH_STORE_NT
	s_wait_loadcnt 0x2
	global_store_b128 v[24:25], v[32:35], off offset:512 th:TH_STORE_NT
	s_wait_loadcnt 0x1
	global_store_b128 v[24:25], v[36:39], off offset:1024 th:TH_STORE_NT
	;; [unrolled: 2-line block ×3, first 2 shown]
	s_or_b32 s3, vcc_lo, s3
	s_wait_xcnt 0x0
	s_and_not1_b32 exec_lo, exec_lo, s3
	s_cbranch_execnz .LBB6_18
; %bb.19:
	s_or_b32 exec_lo, exec_lo, s3
.LBB6_20:
	s_delay_alu instid0(SALU_CYCLE_1) | instskip(SKIP_4) | instid1(VALU_DEP_2)
	s_or_b32 exec_lo, exec_lo, s2
	v_lshlrev_b64_e32 v[8:9], 11, v[0:1]
	v_mov_b64_e32 v[0:1], 0
	s_mov_b32 s3, 0
	s_mov_b32 s2, exec_lo
                                        ; implicit-def: $vgpr2_vgpr3
                                        ; implicit-def: $vgpr27
	v_cmpx_ne_u64_e64 v[4:5], v[8:9]
	s_cbranch_execz .LBB6_30
; %bb.21:
	v_sub_nc_u64_e32 v[16:17], v[4:5], v[8:9]
	s_mov_b32 s3, exec_lo
	s_delay_alu instid0(VALU_DEP_1) | instskip(NEXT) | instid1(VALU_DEP_1)
	v_dual_mov_b32 v21, 0 :: v_dual_ashrrev_i32 v0, 31, v17
	v_lshrrev_b32_e32 v20, 23, v0
	s_delay_alu instid0(VALU_DEP_1) | instskip(NEXT) | instid1(VALU_DEP_1)
	v_add_nc_u64_e32 v[0:1], v[16:17], v[20:21]
	v_ashrrev_i64 v[18:19], 9, v[0:1]
	v_and_b32_e32 v0, 0xfffffe00, v0
	s_delay_alu instid0(VALU_DEP_1) | instskip(SKIP_1) | instid1(VALU_DEP_2)
	v_sub_nc_u64_e32 v[2:3], v[16:17], v[0:1]
	v_add_nc_u64_e32 v[0:1], v[0:1], v[8:9]
	v_cmpx_lt_i64_e32 15, v[2:3]
; %bb.22:
	v_and_b32_e32 v20, 15, v4
	v_add_nc_u64_e32 v[18:19], 1, v[18:19]
	s_delay_alu instid0(VALU_DEP_2) | instskip(NEXT) | instid1(VALU_DEP_1)
	v_sub_nc_u64_e32 v[2:3], v[2:3], v[20:21]
	v_add_nc_u64_e32 v[0:1], v[2:3], v[0:1]
	v_mov_b64_e32 v[2:3], v[20:21]
; %bb.23:
	s_or_b32 exec_lo, exec_lo, s3
	v_lshlrev_b32_e32 v4, 5, v6
	s_mov_b32 s3, exec_lo
	s_delay_alu instid0(VALU_DEP_1) | instskip(NEXT) | instid1(VALU_DEP_1)
	v_sub_nc_u32_e32 v4, v22, v4
	v_ashrrev_i32_e32 v5, 31, v4
	s_delay_alu instid0(VALU_DEP_1) | instskip(NEXT) | instid1(VALU_DEP_1)
	v_lshrrev_b32_e32 v5, 27, v5
	v_add_nc_u32_e32 v5, v4, v5
	s_delay_alu instid0(VALU_DEP_1) | instskip(NEXT) | instid1(VALU_DEP_1)
	v_and_b32_e32 v6, 0xffffffe0, v5
	v_dual_sub_nc_u32 v22, v4, v6 :: v_dual_ashrrev_i32 v4, 5, v5
	s_delay_alu instid0(VALU_DEP_1) | instskip(NEXT) | instid1(VALU_DEP_1)
	v_lshlrev_b32_e32 v5, 4, v22
	v_lshl_add_u32 v20, v4, 9, v5
	v_ashrrev_i32_e32 v5, 31, v4
	s_delay_alu instid0(VALU_DEP_2) | instskip(NEXT) | instid1(VALU_DEP_2)
	v_ashrrev_i32_e32 v21, 31, v20
	v_sub_nc_u64_e32 v[4:5], v[18:19], v[4:5]
	s_delay_alu instid0(VALU_DEP_2) | instskip(NEXT) | instid1(VALU_DEP_1)
	v_sub_nc_u64_e32 v[6:7], v[16:17], v[20:21]
	v_cmpx_lt_i64_e32 15, v[6:7]
	s_cbranch_execz .LBB6_27
; %bb.24:
	v_ashrrev_i16 v16, 15, v26
	v_add_nc_u64_e32 v[18:19], v[14:15], v[8:9]
	s_mov_b32 s4, 0
	s_delay_alu instid0(VALU_DEP_2) | instskip(NEXT) | instid1(VALU_DEP_2)
	v_lshrrev_b16 v16, 11, v16
	v_add_nc_u64_e32 v[18:19], v[18:19], v[20:21]
	s_delay_alu instid0(VALU_DEP_2) | instskip(NEXT) | instid1(VALU_DEP_1)
	v_add_nc_u16 v16, v26, v16
	v_ashrrev_i16 v16, 5, v16
	s_delay_alu instid0(VALU_DEP_1) | instskip(NEXT) | instid1(VALU_DEP_1)
	v_bfe_i32 v16, v16, 0, 16
	v_dual_lshlrev_b32 v8, 9, v16 :: v_dual_ashrrev_i32 v17, 31, v16
	s_delay_alu instid0(VALU_DEP_1)
	v_ashrrev_i32_e32 v9, 31, v8
.LBB6_25:                               ; =>This Inner Loop Header: Depth=1
	v_add_nc_u64_e32 v[20:21], v[12:13], v[18:19]
	s_delay_alu instid0(VALU_DEP_2) | instskip(NEXT) | instid1(VALU_DEP_4)
	v_sub_nc_u64_e32 v[6:7], v[6:7], v[8:9]
	v_sub_nc_u64_e32 v[4:5], v[4:5], v[16:17]
	global_load_b128 v[28:31], v[20:21], off th:TH_LOAD_NT
	v_cmp_gt_i64_e32 vcc_lo, 16, v[6:7]
	s_wait_xcnt 0x0
	v_add_nc_u64_e32 v[20:21], v[10:11], v[18:19]
	v_add_nc_u64_e32 v[18:19], v[18:19], v[8:9]
	s_or_b32 s4, vcc_lo, s4
	s_wait_loadcnt 0x0
	global_store_b128 v[20:21], v[28:31], off th:TH_STORE_NT
	s_wait_xcnt 0x0
	s_and_not1_b32 exec_lo, exec_lo, s4
	s_cbranch_execnz .LBB6_25
; %bb.26:
	s_or_b32 exec_lo, exec_lo, s4
.LBB6_27:
	s_delay_alu instid0(SALU_CYCLE_1) | instskip(NEXT) | instid1(SALU_CYCLE_1)
	s_or_b32 exec_lo, exec_lo, s3
	s_mov_b32 s3, exec_lo
	s_delay_alu instid0(VALU_DEP_3)
	v_cmpx_lt_i64_e32 0, v[4:5]
	s_cbranch_execz .LBB6_29
; %bb.28:
	v_ashrrev_i16 v6, 15, v26
	s_delay_alu instid0(VALU_DEP_1) | instskip(NEXT) | instid1(VALU_DEP_1)
	v_lshrrev_b16 v6, 11, v6
	v_add_nc_u16 v6, v26, v6
	s_delay_alu instid0(VALU_DEP_1) | instskip(NEXT) | instid1(VALU_DEP_1)
	v_ashrrev_i16 v6, 5, v6
	v_bfe_i32 v6, v6, 0, 16
	s_delay_alu instid0(VALU_DEP_1) | instskip(NEXT) | instid1(VALU_DEP_1)
	v_ashrrev_i32_e32 v7, 31, v6
	v_sub_nc_u64_e32 v[4:5], v[4:5], v[6:7]
.LBB6_29:
	s_or_b32 exec_lo, exec_lo, s3
	s_delay_alu instid0(VALU_DEP_1) | instskip(SKIP_1) | instid1(VALU_DEP_2)
	v_lshlrev_b32_e32 v4, 5, v4
	v_cmp_ne_u64_e32 vcc_lo, 0, v[2:3]
	v_sub_nc_u32_e32 v27, v22, v4
	s_and_b32 s3, vcc_lo, exec_lo
.LBB6_30:
	s_or_b32 exec_lo, exec_lo, s2
	v_mov_b64_e32 v[4:5], v[2:3]
	s_and_b32 exec_lo, exec_lo, s3
	s_cbranch_execz .LBB6_39
.LBB6_31:
	s_delay_alu instid0(VALU_DEP_1) | instskip(SKIP_1) | instid1(VALU_DEP_1)
	v_dual_ashrrev_i32 v2, 31, v27 :: v_dual_ashrrev_i32 v3, 31, v5
	s_mov_b32 s2, exec_lo
	v_dual_lshrrev_b32 v6, 27, v2 :: v_dual_lshrrev_b32 v2, 23, v3
	s_delay_alu instid0(VALU_DEP_1) | instskip(NEXT) | instid1(VALU_DEP_1)
	v_dual_mov_b32 v3, 0 :: v_dual_add_nc_u32 v16, v27, v6
	v_add_nc_u64_e32 v[6:7], v[4:5], v[2:3]
	s_delay_alu instid0(VALU_DEP_2) | instskip(NEXT) | instid1(VALU_DEP_2)
	v_ashrrev_i32_e32 v2, 5, v16
	v_ashrrev_i64 v[8:9], 9, v[6:7]
	s_delay_alu instid0(VALU_DEP_2) | instskip(NEXT) | instid1(VALU_DEP_1)
	v_ashrrev_i32_e32 v3, 31, v2
	v_sub_nc_u64_e32 v[6:7], v[8:9], v[2:3]
	s_delay_alu instid0(VALU_DEP_1)
	v_cmpx_lt_i64_e32 0, v[6:7]
	s_cbranch_execz .LBB6_35
; %bb.32:
	v_ashrrev_i16 v3, 15, v26
	v_and_b32_e32 v16, 0xffffffe0, v16
	v_add_nc_u64_e32 v[24:25], v[14:15], v[0:1]
	s_mov_b32 s3, 0
	s_delay_alu instid0(VALU_DEP_3) | instskip(NEXT) | instid1(VALU_DEP_3)
	v_lshrrev_b16 v3, 11, v3
	v_sub_nc_u32_e32 v17, v27, v16
	s_delay_alu instid0(VALU_DEP_3) | instskip(NEXT) | instid1(VALU_DEP_3)
	v_add_nc_u64_e32 v[22:23], v[24:25], v[12:13]
	v_add_nc_u16 v3, v26, v3
	v_add_nc_u64_e32 v[24:25], v[24:25], v[10:11]
	s_delay_alu instid0(VALU_DEP_2) | instskip(NEXT) | instid1(VALU_DEP_1)
	v_ashrrev_i16 v3, 5, v3
	v_bfe_i32 v16, v3, 0, 16
	s_delay_alu instid0(VALU_DEP_1) | instskip(SKIP_2) | instid1(VALU_DEP_2)
	v_lshlrev_b32_e32 v20, 9, v16
	v_lshl_add_u32 v18, v2, 9, v17
	v_ashrrev_i32_e32 v17, 31, v16
	v_dual_ashrrev_i32 v21, 31, v20 :: v_dual_ashrrev_i32 v19, 31, v18
.LBB6_33:                               ; =>This Inner Loop Header: Depth=1
	s_delay_alu instid0(VALU_DEP_1) | instskip(NEXT) | instid1(VALU_DEP_3)
	v_add_nc_u64_e32 v[28:29], v[18:19], v[22:23]
	v_sub_nc_u64_e32 v[6:7], v[6:7], v[16:17]
	s_delay_alu instid0(VALU_DEP_3)
	v_add_nc_u64_e32 v[22:23], v[22:23], v[20:21]
	s_clause 0xf
	flat_load_u8 v3, v[28:29] th:TH_LOAD_NT
	flat_load_u8 v30, v[28:29] offset:32 th:TH_LOAD_NT
	flat_load_u8 v31, v[28:29] offset:64 th:TH_LOAD_NT
	;; [unrolled: 1-line block ×15, first 2 shown]
	v_cmp_gt_i64_e32 vcc_lo, 1, v[6:7]
	s_wait_xcnt 0x0
	v_add_nc_u64_e32 v[28:29], v[18:19], v[24:25]
	v_add_nc_u64_e32 v[24:25], v[24:25], v[20:21]
	s_wait_loadcnt_dscnt 0xf0f
	flat_store_b8 v[28:29], v3 th:TH_STORE_NT
	s_wait_loadcnt_dscnt 0xe0f
	flat_store_b8 v[28:29], v30 offset:32 th:TH_STORE_NT
	s_wait_loadcnt_dscnt 0xd0f
	flat_store_b8 v[28:29], v31 offset:64 th:TH_STORE_NT
	;; [unrolled: 2-line block ×15, first 2 shown]
	s_or_b32 s3, vcc_lo, s3
	s_wait_xcnt 0x0
	s_and_not1_b32 exec_lo, exec_lo, s3
	s_cbranch_execnz .LBB6_33
; %bb.34:
	s_or_b32 exec_lo, exec_lo, s3
.LBB6_35:
	s_delay_alu instid0(SALU_CYCLE_1) | instskip(SKIP_1) | instid1(VALU_DEP_1)
	s_or_b32 exec_lo, exec_lo, s2
	v_lshlrev_b64_e32 v[8:9], 9, v[8:9]
	v_cmp_ne_u64_e32 vcc_lo, v[4:5], v[8:9]
	s_and_b32 exec_lo, exec_lo, vcc_lo
	s_cbranch_execz .LBB6_39
; %bb.36:
	v_lshlrev_b32_e32 v2, 5, v2
	v_lshlrev_b32_e32 v3, 5, v6
	s_delay_alu instid0(VALU_DEP_2) | instskip(NEXT) | instid1(VALU_DEP_1)
	v_sub_nc_u32_e32 v2, v27, v2
	v_sub_nc_u32_e32 v6, v2, v3
	s_delay_alu instid0(VALU_DEP_1) | instskip(NEXT) | instid1(VALU_DEP_1)
	v_ashrrev_i32_e32 v7, 31, v6
	v_add_nc_u64_e32 v[2:3], v[8:9], v[6:7]
	s_delay_alu instid0(VALU_DEP_1) | instskip(NEXT) | instid1(VALU_DEP_1)
	v_sub_nc_u64_e32 v[2:3], v[4:5], v[2:3]
	v_cmp_lt_i64_e32 vcc_lo, 0, v[2:3]
	s_and_b32 exec_lo, exec_lo, vcc_lo
	s_cbranch_execz .LBB6_39
; %bb.37:
	v_ashrrev_i16 v4, 15, v26
	v_add_nc_u64_e32 v[0:1], v[14:15], v[0:1]
	s_mov_b32 s2, 0
	s_delay_alu instid0(VALU_DEP_2) | instskip(NEXT) | instid1(VALU_DEP_1)
	v_lshrrev_b16 v4, 11, v4
	v_add_nc_u16 v4, v26, v4
	s_delay_alu instid0(VALU_DEP_1) | instskip(NEXT) | instid1(VALU_DEP_1)
	v_ashrrev_i16 v4, 5, v4
	v_bfe_i32 v14, v4, 0, 16
	v_add_nc_u64_e32 v[4:5], v[0:1], v[8:9]
	s_delay_alu instid0(VALU_DEP_2) | instskip(NEXT) | instid1(VALU_DEP_2)
	v_lshlrev_b32_e32 v0, 5, v14
	v_add_nc_u64_e32 v[4:5], v[4:5], v[6:7]
	s_delay_alu instid0(VALU_DEP_2)
	v_ashrrev_i32_e32 v1, 31, v0
.LBB6_38:                               ; =>This Inner Loop Header: Depth=1
	s_delay_alu instid0(VALU_DEP_2) | instskip(NEXT) | instid1(VALU_DEP_2)
	v_add_nc_u64_e32 v[6:7], v[12:13], v[4:5]
	v_sub_nc_u64_e32 v[2:3], v[2:3], v[0:1]
	flat_load_u8 v8, v[6:7] th:TH_LOAD_NT
	v_cmp_gt_i64_e32 vcc_lo, 1, v[2:3]
	s_wait_xcnt 0x0
	v_add_nc_u64_e32 v[6:7], v[10:11], v[4:5]
	v_add_nc_u64_e32 v[4:5], v[4:5], v[0:1]
	s_or_b32 s2, vcc_lo, s2
	s_wait_loadcnt_dscnt 0x0
	flat_store_b8 v[6:7], v8 th:TH_STORE_NT
	s_wait_xcnt 0x0
	s_and_not1_b32 exec_lo, exec_lo, s2
	s_cbranch_execnz .LBB6_38
.LBB6_39:
	s_or_b32 exec_lo, exec_lo, s0
                                        ; implicit-def: $vgpr50_vgpr51
                                        ; implicit-def: $vgpr14_vgpr15
                                        ; implicit-def: $vgpr4_vgpr5
                                        ; implicit-def: $vgpr48_vgpr49
                                        ; implicit-def: $vgpr3
                                        ; implicit-def: $vgpr2
                                        ; implicit-def: $vgpr0
                                        ; implicit-def: $vgpr31
                                        ; implicit-def: $vgpr12_vgpr13
                                        ; implicit-def: $vgpr8_vgpr9
	s_and_not1_saveexec_b32 s11, s1
	s_cbranch_execz .LBB6_10
.LBB6_40:
	s_load_b32 s0, s[8:9], 0x0
	s_bfe_u32 s1, ttmp6, 0x4000c
	s_and_b32 s2, ttmp6, 15
	s_add_co_i32 s1, s1, 1
	s_getreg_b32 s3, hwreg(HW_REG_IB_STS2, 6, 4)
	s_mul_i32 s1, ttmp9, s1
	v_mov_b32_e32 v1, 0
	s_add_co_i32 s2, s2, s1
	s_cmp_eq_u32 s3, 0
	s_mov_b32 s1, 0
	s_cselect_b32 s2, ttmp9, s2
	s_wait_loadcnt 0x2
	v_lshrrev_b64 v[8:9], 31, v[8:9]
	v_mov_b64_e32 v[16:17], 0
	s_delay_alu instid0(VALU_DEP_2) | instskip(SKIP_3) | instid1(VALU_DEP_1)
	v_and_b32_e32 v7, 3, v8
	s_wait_kmcnt 0x0
	s_cmp_lt_u32 s2, s0
	s_cselect_b32 s0, 12, 18
	v_and_b32_e32 v7, 0xffff, v7
	s_add_nc_u64 s[2:3], s[8:9], s[0:1]
	global_load_u16 v30, v1, s[2:3]
	s_wait_xcnt 0x0
	v_ashrrev_i32_e32 v1, 31, v0
	s_trap 2
	ds_load_b32 v18, v0
	v_lshrrev_b32_e32 v6, 27, v1
	s_delay_alu instid0(VALU_DEP_1) | instskip(NEXT) | instid1(VALU_DEP_1)
	v_add_nc_u32_e32 v6, v0, v6
	v_and_b32_e32 v6, 0xffffffe0, v6
	s_delay_alu instid0(VALU_DEP_1) | instskip(SKIP_3) | instid1(VALU_DEP_3)
	v_sub_nc_u32_e32 v6, v0, v6
	s_wait_dscnt 0x0
	v_cmp_gt_i32_e32 vcc_lo, 0, v18
	v_readfirstlane_b32 s3, v18
	v_cmp_eq_u32_e64 s0, 0, v6
	s_cbranch_vccnz .LBB6_42
; %bb.41:
	s_trap 2
	ds_load_b64 v[8:9], v0
	s_mov_b32 s1, 1
	s_wait_dscnt 0x0
	v_readfirstlane_b32 s4, v8
	v_readfirstlane_b32 s5, v9
	flat_load_b64 v[8:9], v18, s[4:5] scale_offset
	s_wait_loadcnt_dscnt 0x0
	v_mad_nc_u64_u32 v[8:9], 0xa8, v7, v[8:9]
	s_clause 0x1
	flat_load_b64 v[20:21], v[8:9] offset:504
	flat_load_b64 v[22:23], v[8:9] offset:608
	s_wait_xcnt 0x2
	v_add_nc_u64_e32 v[18:19], 0x1f8, v[8:9]
	s_wait_xcnt 0x0
	s_delay_alu instid0(VALU_DEP_1)
	v_dual_cndmask_b32 v9, 0, v19, s0 :: v_dual_cndmask_b32 v8, 0, v18, s0
	s_branch .LBB6_43
.LBB6_42:
	v_mov_b64_e32 v[18:19], 0
	v_mov_b64_e32 v[8:9], 0
                                        ; implicit-def: $vgpr22_vgpr23
                                        ; implicit-def: $vgpr20_vgpr21
.LBB6_43:
	s_trap 2
	ds_load_b32 v24, v0
	s_wait_dscnt 0x0
	v_cmp_gt_i32_e32 vcc_lo, 0, v24
	s_cbranch_vccnz .LBB6_45
; %bb.44:
	s_trap 2
	ds_load_b64 v[16:17], v0
	v_cmp_eq_u32_e32 vcc_lo, 0, v6
	s_wait_dscnt 0x0
	v_readfirstlane_b32 s4, v16
	v_readfirstlane_b32 s5, v17
	flat_load_b64 v[16:17], v24, s[4:5] scale_offset
	s_wait_loadcnt_dscnt 0x0
	v_mad_nc_u64_u32 v[16:17], 0xa8, v7, v[16:17]
	s_clause 0x1
	flat_load_b64 v[24:25], v[16:17]
	flat_load_b64 v[26:27], v[16:17] offset:104
	v_dual_cndmask_b32 v37, 0, v17 :: v_dual_cndmask_b32 v36, 0, v16
	s_branch .LBB6_46
.LBB6_45:
	v_mov_b64_e32 v[36:37], 0
                                        ; implicit-def: $vgpr26_vgpr27
                                        ; implicit-def: $vgpr24_vgpr25
.LBB6_46:
	v_subrev_nc_u32_e32 v28, 32, v2
	v_cmp_gt_i32_e32 vcc_lo, s1, v6
	v_mov_b64_e32 v[6:7], 0
	v_mov_b64_e32 v[32:33], 0
	s_delay_alu instid0(VALU_DEP_4)
	v_cmp_ge_i32_e64 s0, v0, v28
                                        ; implicit-def: $vgpr28_vgpr29
	s_and_b32 s12, s0, vcc_lo
	s_wait_xcnt 0x0
	s_and_saveexec_b32 s0, s12
	s_cbranch_execz .LBB6_48
; %bb.47:
	s_clause 0x1
	flat_load_b64 v[32:33], v[8:9] offset:56
	flat_load_b64 v[28:29], v[8:9] offset:104
.LBB6_48:
	s_wait_xcnt 0x0
	s_or_b32 exec_lo, exec_lo, s0
	v_mov_b64_e32 v[34:35], 0
	v_cmp_gt_i32_e64 s0, s1, v0
                                        ; implicit-def: $vgpr52_vgpr53
	s_and_saveexec_b32 s1, s0
	s_cbranch_execz .LBB6_50
; %bb.49:
	flat_load_b64 v[34:35], v[36:37] offset:56
	s_wait_loadcnt_dscnt 0x0
	flat_load_b64 v[52:53], v[34:35] scope:SCOPE_SYS
	s_wait_loadcnt 0x0
	flat_load_b128 v[6:9], v[36:37] offset:96
.LBB6_50:
	s_wait_xcnt 0x0
	s_or_b32 exec_lo, exec_lo, s1
	v_mov_b64_e32 v[36:37], 0
	s_wait_loadcnt 0x0
	v_and_b32_e32 v30, 0xffff, v30
	s_mov_b32 s13, exec_lo
	v_cmpx_ne_u64_e32 0, v[4:5]
	s_cbranch_execnz .LBB6_66
; %bb.51:
	s_or_b32 exec_lo, exec_lo, s13
	s_and_saveexec_b32 s1, s12
	s_cbranch_execnz .LBB6_339
.LBB6_52:
	s_or_b32 exec_lo, exec_lo, s1
	s_and_saveexec_b32 s1, s0
	s_cbranch_execz .LBB6_54
.LBB6_53:
	s_wait_dscnt 0x0
	flat_store_b64 v[16:17], v[8:9] offset:104
.LBB6_54:
	s_wait_xcnt 0x0
	s_or_b32 exec_lo, exec_lo, s1
	s_delay_alu instid0(SALU_CYCLE_1)
	s_mov_b32 s0, exec_lo
	v_cmpx_ne_u32_e32 32, v2
	s_cbranch_execz .LBB6_346
; %bb.55:
	s_mov_b32 s1, exec_lo
	v_cmpx_ne_u32_e64 v2, v30
	s_xor_b32 s1, exec_lo, s1
	s_cbranch_execz .LBB6_344
; %bb.56:
	v_and_b32_e32 v0, 31, v31
	s_mov_b32 s2, exec_lo
	s_delay_alu instid0(VALU_DEP_1)
	v_cmpx_eq_u32_e32 0, v0
	s_cbranch_execz .LBB6_343
; %bb.57:
	s_mov_b32 s4, exec_lo
	s_mov_b32 s3, exec_lo
	v_mbcnt_lo_u32_b32 v0, s4, 0
	global_wb scope:SCOPE_DEV
	s_wait_storecnt 0x0
	s_wait_loadcnt_dscnt 0x0
	global_inv scope:SCOPE_DEV
	v_cmpx_eq_u32_e32 0, v0
	s_cbranch_execz .LBB6_59
; %bb.58:
	s_bcnt1_i32_b32 s4, s4
	s_delay_alu instid0(SALU_CYCLE_1)
	v_dual_mov_b32 v1, 0 :: v_dual_mov_b32 v0, s4
	s_wait_loadcnt 0x0
	ds_add_u64 v0, v[0:1]
	s_trap 2
.LBB6_59:
	s_or_b32 exec_lo, exec_lo, s3
	s_trap 2
	ds_load_b64 v[4:5], v0
	s_wait_dscnt 0x0
	v_dual_mov_b32 v1, 0 :: v_dual_lshrrev_b32 v0, 5, v2
	s_mov_b32 s3, exec_lo
	s_delay_alu instid0(VALU_DEP_1) | instskip(NEXT) | instid1(VALU_DEP_1)
	v_add_nc_u64_e32 v[0:1], v[36:37], v[0:1]
	v_cmpx_lt_u64_e64 v[4:5], v[0:1]
	s_cbranch_execz .LBB6_342
; %bb.60:
	s_mov_b32 s4, 0
	s_mov_b32 s7, 0
                                        ; implicit-def: $sgpr5
                                        ; implicit-def: $sgpr6
	s_branch .LBB6_62
.LBB6_61:                               ;   in Loop: Header=BB6_62 Depth=1
	s_or_b32 exec_lo, exec_lo, s9
	s_delay_alu instid0(SALU_CYCLE_1) | instskip(NEXT) | instid1(SALU_CYCLE_1)
	s_and_b32 s8, exec_lo, s10
	s_or_b32 s4, s8, s4
	s_and_not1_b32 s5, s5, exec_lo
	s_and_b32 s8, s6, exec_lo
	s_delay_alu instid0(SALU_CYCLE_1)
	s_or_b32 s5, s5, s8
	s_and_not1_b32 exec_lo, exec_lo, s4
	s_cbranch_execz .LBB6_340
.LBB6_62:                               ; =>This Inner Loop Header: Depth=1
	s_add_co_i32 s7, s7, 1
	s_delay_alu instid0(SALU_CYCLE_1) | instskip(SKIP_1) | instid1(SALU_CYCLE_1)
	s_cmp_lg_u32 s7, 0x2710
	s_cselect_b32 s8, -1, 0
	s_and_b32 vcc_lo, exec_lo, s8
	s_cbranch_vccz .LBB6_64
; %bb.63:                               ;   in Loop: Header=BB6_62 Depth=1
	s_mov_b32 s10, -1
	s_or_b32 s6, s6, exec_lo
	s_and_saveexec_b32 s9, s8
	s_cbranch_execz .LBB6_61
	s_branch .LBB6_65
.LBB6_64:                               ;   in Loop: Header=BB6_62 Depth=1
	s_trap 2
	ds_load_b64 v[2:3], v0
	s_and_not1_b32 s8, s8, exec_lo
	s_mov_b32 s7, 0
	s_wait_loadcnt_dscnt 0x0
	flat_load_b32 v2, v[2:3] scope:SCOPE_SYS
	s_wait_loadcnt_dscnt 0x0
	global_inv scope:SCOPE_SYS
	v_cmp_eq_u32_e32 vcc_lo, 0, v2
	s_and_b32 s9, vcc_lo, exec_lo
	s_delay_alu instid0(SALU_CYCLE_1)
	s_or_b32 s8, s8, s9
	s_mov_b32 s10, -1
	s_or_b32 s6, s6, exec_lo
	s_and_saveexec_b32 s9, s8
	s_cbranch_execz .LBB6_61
.LBB6_65:                               ;   in Loop: Header=BB6_62 Depth=1
	s_sleep 1
	s_trap 2
	ds_load_b64 v[2:3], v0
	s_wait_dscnt 0x0
	s_and_not1_b32 s6, s6, exec_lo
	v_cmp_ge_u64_e32 vcc_lo, v[2:3], v[0:1]
	s_or_not1_b32 s10, vcc_lo, exec_lo
	s_branch .LBB6_61
.LBB6_66:
	v_cvt_f64_u32_e32 v[36:37], 0
	v_dual_mov_b32 v49, 0 :: v_dual_lshlrev_b32 v38, 4, v48
	v_lshlrev_b32_e32 v54, 3, v0
	v_cmp_ne_u32_e64 s1, v50, v3
	v_cmp_ne_u32_e64 s2, v51, v3
	s_delay_alu instid0(VALU_DEP_4) | instskip(SKIP_3) | instid1(VALU_DEP_3)
	v_and_b32_e32 v38, 0x1fffff0, v38
	v_dual_mov_b32 v39, v49 :: v_dual_bitop2_b32 v3, 31, v31 bitop3:0x40
	v_lshrrev_b32_e32 v66, 5, v2
	s_ashr_i32 s4, s3, 31
	v_cvt_f64_u32_e32 v[64:65], v38
	s_lshr_b32 s4, s4, 29
	v_cmp_eq_u32_e64 s7, 0, v3
	v_dual_mov_b32 v3, v49 :: v_dual_mov_b32 v69, v49
	v_and_b32_e32 v48, 0x1fffff, v48
	s_add_co_i32 s3, s3, s4
	v_cmp_ne_u64_e32 vcc_lo, v[12:13], v[10:11]
	v_mov_b64_e32 v[50:51], 0
	s_ashr_i32 s14, s3, 7
	v_cmp_ne_u64_e64 s3, 0, v[34:35]
	s_wait_dscnt 0x0
	v_cmp_ne_u64_e64 s4, 0, v[6:7]
	v_cmp_ne_u64_e64 s8, 0, v[32:33]
	v_lshlrev_b64_e32 v[82:83], 4, v[2:3]
	v_cmp_ne_u32_e64 s5, 32, v2
	v_cmp_ne_u32_e64 s6, v2, v30
	v_dual_mov_b32 v67, v49 :: v_dual_lshlrev_b32 v68, 3, v2
	v_lshl_add_u64 v[86:87], v[0:1], 4, v[24:25]
	v_mov_b32_e32 v116, 0
	s_xor_b32 s9, s10, -1
	v_ldexp_f64 v[36:37], v[36:37], 32
	s_mov_b32 s10, 0
	s_and_b32 s15, s9, vcc_lo
	v_dual_ashrrev_i32 v55, 31, v54 :: v_dual_mov_b32 v115, 1
	v_lshlrev_b32_e32 v114, 6, v2
	s_delay_alu instid0(VALU_DEP_2) | instskip(NEXT) | instid1(VALU_DEP_4)
	v_add_nc_u64_e32 v[70:71], v[10:11], v[54:55]
	v_add_f64_e32 v[64:65], v[36:37], v[64:65]
	v_add_nc_u64_e32 v[36:37], v[14:15], v[54:55]
	v_lshlrev_b32_e32 v55, 7, v48
	s_delay_alu instid0(VALU_DEP_2) | instskip(SKIP_2) | instid1(VALU_DEP_3)
	v_add_nc_u64_e32 v[80:81], v[36:37], v[12:13]
	v_add_nc_u64_e32 v[84:85], v[10:11], v[36:37]
	v_mov_b64_e32 v[36:37], 0
	v_lshlrev_b32_e32 v3, 3, v80
	s_branch .LBB6_70
.LBB6_67:                               ;   in Loop: Header=BB6_70 Depth=1
	s_or_b32 exec_lo, exec_lo, s9
	v_add_nc_u64_e32 v[26:27], 1, v[26:27]
.LBB6_68:                               ;   in Loop: Header=BB6_70 Depth=1
	s_or_b32 exec_lo, exec_lo, s17
.LBB6_69:                               ;   in Loop: Header=BB6_70 Depth=1
	s_delay_alu instid0(SALU_CYCLE_1) | instskip(SKIP_4) | instid1(VALU_DEP_4)
	s_or_b32 exec_lo, exec_lo, s16
	v_add_nc_u64_e32 v[50:51], v[50:51], v[38:39]
	v_add_nc_u64_e32 v[80:81], v[80:81], v[38:39]
	;; [unrolled: 1-line block ×3, first 2 shown]
	v_add_nc_u32_e32 v3, v3, v55
	v_cmp_ge_u64_e32 vcc_lo, v[50:51], v[4:5]
	s_or_b32 s10, vcc_lo, s10
	s_delay_alu instid0(SALU_CYCLE_1)
	s_and_not1_b32 exec_lo, exec_lo, s10
	s_cbranch_execz .LBB6_338
.LBB6_70:                               ; =>This Loop Header: Depth=1
                                        ;     Child Loop BB6_77 Depth 2
                                        ;     Child Loop BB6_96 Depth 2
	;; [unrolled: 1-line block ×3, first 2 shown]
                                        ;       Child Loop BB6_140 Depth 3
                                        ;     Child Loop BB6_206 Depth 2
                                        ;     Child Loop BB6_113 Depth 2
	;; [unrolled: 1-line block ×3, first 2 shown]
                                        ;       Child Loop BB6_172 Depth 3
                                        ;     Child Loop BB6_218 Depth 2
                                        ;     Child Loop BB6_128 Depth 2
                                        ;     Child Loop BB6_236 Depth 2
                                        ;     Child Loop BB6_264 Depth 2
                                        ;     Child Loop BB6_289 Depth 2
                                        ;     Child Loop BB6_297 Depth 2
                                        ;     Child Loop BB6_316 Depth 2
                                        ;     Child Loop BB6_330 Depth 2
                                        ;     Child Loop BB6_337 Depth 2
	s_wait_loadcnt 0x0
	v_sub_nc_u64_e32 v[10:11], v[4:5], v[50:51]
	s_delay_alu instid0(VALU_DEP_1) | instskip(NEXT) | instid1(VALU_DEP_2)
	v_cvt_f64_u32_e32 v[12:13], v11
	v_cvt_f64_u32_e32 v[10:11], v10
	s_delay_alu instid0(VALU_DEP_2) | instskip(NEXT) | instid1(VALU_DEP_1)
	v_ldexp_f64 v[12:13], v[12:13], 32
	v_add_f64_e32 v[10:11], v[12:13], v[10:11]
	v_max_num_f64_e32 v[12:13], v[64:65], v[64:65]
	s_delay_alu instid0(VALU_DEP_1) | instskip(NEXT) | instid1(VALU_DEP_1)
	v_min_num_f64_e32 v[10:11], v[12:13], v[10:11]
	v_cvt_i32_f64_e32 v1, v[10:11]
	s_delay_alu instid0(VALU_DEP_1) | instskip(SKIP_1) | instid1(SALU_CYCLE_1)
	v_max_i32_e32 v1, 0, v1
	s_and_saveexec_b32 s9, s1
	s_xor_b32 s16, exec_lo, s9
	s_cbranch_execz .LBB6_121
; %bb.71:                               ;   in Loop: Header=BB6_70 Depth=1
	v_add_nc_u64_e32 v[10:11], v[50:51], v[14:15]
	s_and_saveexec_b32 s9, s2
	s_delay_alu instid0(SALU_CYCLE_1)
	s_xor_b32 s17, exec_lo, s9
	s_cbranch_execz .LBB6_115
; %bb.72:                               ;   in Loop: Header=BB6_70 Depth=1
	s_and_saveexec_b32 s18, s3
	s_cbranch_execz .LBB6_88
; %bb.73:                               ;   in Loop: Header=BB6_70 Depth=1
	v_add_nc_u64_e32 v[12:13], 1, v[8:9]
	s_wait_dscnt 0x0
	v_add_nc_u64_e32 v[96:97], 8, v[52:53]
	s_mov_b32 s19, exec_lo
	s_delay_alu instid0(VALU_DEP_1)
	v_cmpx_lt_u64_e64 v[96:97], v[12:13]
	s_cbranch_execz .LBB6_85
; %bb.74:                               ;   in Loop: Header=BB6_70 Depth=1
	s_mov_b32 s20, 0
	s_mov_b32 s24, 0
	v_cmp_eq_u32_e32 vcc_lo, 0, v116
                                        ; implicit-def: $sgpr21
                                        ; implicit-def: $sgpr22
                                        ; implicit-def: $sgpr23
	s_branch .LBB6_77
.LBB6_75:                               ;   in Loop: Header=BB6_77 Depth=2
	s_or_b32 exec_lo, exec_lo, s29
	s_delay_alu instid0(SALU_CYCLE_1)
	s_and_not1_b32 s9, s23, exec_lo
	s_and_b32 s23, s27, exec_lo
	s_and_not1_b32 s22, s22, exec_lo
	s_and_b32 s26, s26, exec_lo
	s_or_b32 s23, s9, s23
	s_or_b32 s22, s22, s26
.LBB6_76:                               ;   in Loop: Header=BB6_77 Depth=2
	s_or_b32 exec_lo, exec_lo, s25
	s_delay_alu instid0(SALU_CYCLE_1) | instskip(NEXT) | instid1(SALU_CYCLE_1)
	s_and_b32 s9, exec_lo, s22
	s_or_b32 s20, s9, s20
	s_and_not1_b32 s9, s21, exec_lo
	s_and_b32 s21, s23, exec_lo
	s_delay_alu instid0(SALU_CYCLE_1)
	s_or_b32 s21, s9, s21
	s_and_not1_b32 exec_lo, exec_lo, s20
	s_cbranch_execz .LBB6_82
.LBB6_77:                               ;   Parent Loop BB6_70 Depth=1
                                        ; =>  This Inner Loop Header: Depth=2
	s_sleep 1
	s_wait_loadcnt_dscnt 0x0
	flat_load_b64 v[52:53], v[34:35] scope:SCOPE_DEV
	v_mov_b32_e32 v116, 1
	s_or_b32 s23, s23, exec_lo
	s_or_b32 s22, s22, exec_lo
                                        ; implicit-def: $vgpr9
	s_wait_xcnt 0x0
	s_and_saveexec_b32 s25, vcc_lo
	s_cbranch_execz .LBB6_76
; %bb.78:                               ;   in Loop: Header=BB6_77 Depth=2
	s_add_co_i32 s24, s24, 1
	s_mov_b32 s26, -1
	s_cmp_lg_u32 s24, 0x2710
	s_mov_b32 s27, -1
	s_cselect_b32 s28, -1, 0
	s_cmp_eq_u32 s24, 0x2710
                                        ; implicit-def: $vgpr9
	s_cbranch_scc1 .LBB6_80
; %bb.79:                               ;   in Loop: Header=BB6_77 Depth=2
	v_mov_b32_e32 v116, 1
	s_and_saveexec_b32 s29, s28
	s_cbranch_execz .LBB6_75
	s_branch .LBB6_81
.LBB6_80:                               ;   in Loop: Header=BB6_77 Depth=2
	s_trap 2
	ds_load_b64 v[96:97], v0
	s_and_not1_b32 s24, s28, exec_lo
	s_mov_b32 s27, 0
	s_wait_storecnt 0x0
	s_wait_loadcnt_dscnt 0x0
	flat_load_b32 v9, v[96:97] scope:SCOPE_SYS
	s_wait_loadcnt_dscnt 0x0
	global_inv scope:SCOPE_SYS
	v_cmp_eq_u32_e64 s9, 0, v9
	s_and_b32 s9, s9, exec_lo
	s_delay_alu instid0(SALU_CYCLE_1)
	s_or_b32 s28, s24, s9
	s_mov_b32 s24, 0
	v_mov_b32_e32 v116, 1
	s_and_saveexec_b32 s29, s28
	s_cbranch_execz .LBB6_75
.LBB6_81:                               ;   in Loop: Header=BB6_77 Depth=2
	s_wait_loadcnt_dscnt 0x0
	v_add_nc_u64_e32 v[96:97], 8, v[52:53]
	v_mov_b32_e32 v116, 0
	s_or_b32 s27, s27, exec_lo
	s_delay_alu instid0(VALU_DEP_2)
	v_cmp_ge_u64_e64 s9, v[96:97], v[12:13]
	s_or_not1_b32 s26, s9, exec_lo
	s_branch .LBB6_75
.LBB6_82:                               ;   in Loop: Header=BB6_70 Depth=1
	s_or_b32 exec_lo, exec_lo, s20
	s_xor_b32 s9, s21, -1
	s_delay_alu instid0(SALU_CYCLE_1) | instskip(NEXT) | instid1(SALU_CYCLE_1)
	s_and_saveexec_b32 s20, s9
	s_xor_b32 s9, exec_lo, s20
	s_cbranch_execz .LBB6_84
; %bb.83:                               ;   in Loop: Header=BB6_70 Depth=1
	v_mov_b32_e32 v116, 1
	s_wait_storecnt 0x0
	s_wait_loadcnt_dscnt 0x0
	ds_store_b32 v0, v9
	s_trap 2
.LBB6_84:                               ;   in Loop: Header=BB6_70 Depth=1
	s_or_b32 exec_lo, exec_lo, s9
.LBB6_85:                               ;   in Loop: Header=BB6_70 Depth=1
	s_delay_alu instid0(SALU_CYCLE_1)
	s_or_b32 exec_lo, exec_lo, s19
	s_and_saveexec_b32 s9, s4
	s_cbranch_execz .LBB6_87
; %bb.86:                               ;   in Loop: Header=BB6_70 Depth=1
	v_add_nc_u32_e32 v9, 7, v1
	s_delay_alu instid0(VALU_DEP_1) | instskip(NEXT) | instid1(VALU_DEP_1)
	v_ashrrev_i32_e32 v48, 31, v9
	v_lshrrev_b32_e32 v48, 29, v48
	s_delay_alu instid0(VALU_DEP_1) | instskip(SKIP_1) | instid1(VALU_DEP_2)
	v_add_nc_u32_e32 v9, v9, v48
	v_and_b32_e32 v48, 0x7ffffff8, v8
	v_dual_lshrrev_b32 v9, 3, v9 :: v_dual_bitop2_b32 v8, 7, v8 bitop3:0x40
	s_delay_alu instid0(VALU_DEP_2) | instskip(NEXT) | instid1(VALU_DEP_2)
	v_cmp_eq_u64_e32 vcc_lo, 0x7ffffff8, v[48:49]
	v_cndmask_b32_e64 v48, v9, s14, vcc_lo
	s_delay_alu instid0(VALU_DEP_3) | instskip(NEXT) | instid1(VALU_DEP_2)
	v_mad_nc_u64_u32 v[8:9], v8, 24, v[6:7]
	v_lshlrev_b32_e32 v96, 4, v48
	s_delay_alu instid0(VALU_DEP_1)
	v_ashrrev_i32_e32 v97, 31, v96
	flat_store_b64 v[8:9], v[96:97] offset:8 scope:SCOPE_SYS
	s_wait_storecnt 0x0
.LBB6_87:                               ;   in Loop: Header=BB6_70 Depth=1
	s_wait_xcnt 0x0
	s_or_b32 exec_lo, exec_lo, s9
	v_mov_b64_e32 v[8:9], v[12:13]
.LBB6_88:                               ;   in Loop: Header=BB6_70 Depth=1
	s_or_b32 exec_lo, exec_lo, s18
	s_and_saveexec_b32 s9, s5
	s_cbranch_execz .LBB6_107
; %bb.89:                               ;   in Loop: Header=BB6_70 Depth=1
	s_and_saveexec_b32 s18, s6
	s_delay_alu instid0(SALU_CYCLE_1)
	s_xor_b32 s18, exec_lo, s18
	s_cbranch_execz .LBB6_104
; %bb.90:                               ;   in Loop: Header=BB6_70 Depth=1
	s_and_saveexec_b32 s19, s7
	s_cbranch_execz .LBB6_103
; %bb.91:                               ;   in Loop: Header=BB6_70 Depth=1
	s_mov_b32 s21, exec_lo
	s_mov_b32 s20, exec_lo
	v_mbcnt_lo_u32_b32 v12, s21, 0
	global_wb scope:SCOPE_DEV
	s_wait_storecnt 0x0
	s_wait_loadcnt_dscnt 0x0
	global_inv scope:SCOPE_DEV
	v_cmpx_eq_u32_e32 0, v12
	s_cbranch_execz .LBB6_93
; %bb.92:                               ;   in Loop: Header=BB6_70 Depth=1
	s_bcnt1_i32_b32 s21, s21
	s_delay_alu instid0(SALU_CYCLE_1)
	v_mov_b32_e32 v48, s21
	s_wait_loadcnt 0x0
	ds_add_u64 v0, v[48:49]
	s_trap 2
.LBB6_93:                               ;   in Loop: Header=BB6_70 Depth=1
	s_or_b32 exec_lo, exec_lo, s20
	s_trap 2
	ds_load_b64 v[12:13], v0
	s_wait_dscnt 0x0
	v_add_nc_u64_e32 v[36:37], v[36:37], v[66:67]
	s_mov_b32 s20, exec_lo
	s_delay_alu instid0(VALU_DEP_1)
	v_cmpx_lt_u64_e64 v[12:13], v[36:37]
	s_cbranch_execz .LBB6_102
; %bb.94:                               ;   in Loop: Header=BB6_70 Depth=1
	s_mov_b32 s21, 0
	s_mov_b32 s24, 0
                                        ; implicit-def: $sgpr22
                                        ; implicit-def: $sgpr23
	s_branch .LBB6_96
.LBB6_95:                               ;   in Loop: Header=BB6_96 Depth=2
	s_or_b32 exec_lo, exec_lo, s26
	s_delay_alu instid0(SALU_CYCLE_1) | instskip(NEXT) | instid1(SALU_CYCLE_1)
	s_and_b32 s25, exec_lo, s27
	s_or_b32 s21, s25, s21
	s_and_not1_b32 s22, s22, exec_lo
	s_and_b32 s25, s23, exec_lo
	s_delay_alu instid0(SALU_CYCLE_1)
	s_or_b32 s22, s22, s25
	s_and_not1_b32 exec_lo, exec_lo, s21
	s_cbranch_execz .LBB6_100
.LBB6_96:                               ;   Parent Loop BB6_70 Depth=1
                                        ; =>  This Inner Loop Header: Depth=2
	s_add_co_i32 s24, s24, 1
	s_delay_alu instid0(SALU_CYCLE_1) | instskip(SKIP_1) | instid1(SALU_CYCLE_1)
	s_cmp_lg_u32 s24, 0x2710
	s_cselect_b32 s25, -1, 0
	s_and_b32 vcc_lo, exec_lo, s25
	s_cbranch_vccz .LBB6_98
; %bb.97:                               ;   in Loop: Header=BB6_96 Depth=2
	s_mov_b32 s27, -1
	s_or_b32 s23, s23, exec_lo
	s_and_saveexec_b32 s26, s25
	s_cbranch_execz .LBB6_95
	s_branch .LBB6_99
.LBB6_98:                               ;   in Loop: Header=BB6_96 Depth=2
	s_trap 2
	ds_load_b64 v[12:13], v0
	s_and_not1_b32 s25, s25, exec_lo
	s_mov_b32 s24, 0
	s_wait_loadcnt_dscnt 0x0
	flat_load_b32 v12, v[12:13] scope:SCOPE_SYS
	s_wait_loadcnt_dscnt 0x0
	global_inv scope:SCOPE_SYS
	v_cmp_eq_u32_e32 vcc_lo, 0, v12
	s_and_b32 s26, vcc_lo, exec_lo
	s_delay_alu instid0(SALU_CYCLE_1)
	s_or_b32 s25, s25, s26
	s_mov_b32 s27, -1
	s_or_b32 s23, s23, exec_lo
	s_and_saveexec_b32 s26, s25
	s_cbranch_execz .LBB6_95
.LBB6_99:                               ;   in Loop: Header=BB6_96 Depth=2
	s_sleep 1
	s_trap 2
	ds_load_b64 v[12:13], v0
	s_wait_dscnt 0x0
	s_and_not1_b32 s23, s23, exec_lo
	v_cmp_ge_u64_e32 vcc_lo, v[12:13], v[36:37]
	s_or_not1_b32 s27, vcc_lo, exec_lo
	s_branch .LBB6_95
.LBB6_100:                              ;   in Loop: Header=BB6_70 Depth=1
	s_or_b32 exec_lo, exec_lo, s21
	s_and_saveexec_b32 s21, s22
	s_delay_alu instid0(SALU_CYCLE_1)
	s_xor_b32 s21, exec_lo, s21
	s_cbranch_execz .LBB6_102
; %bb.101:                              ;   in Loop: Header=BB6_70 Depth=1
	ds_store_b32 v0, v115
	s_trap 2
.LBB6_102:                              ;   in Loop: Header=BB6_70 Depth=1
	s_or_b32 exec_lo, exec_lo, s20
	;;#ASMSTART
	s_wakeup
	;;#ASMEND
.LBB6_103:                              ;   in Loop: Header=BB6_70 Depth=1
	s_or_b32 exec_lo, exec_lo, s19
.LBB6_104:                              ;   in Loop: Header=BB6_70 Depth=1
	s_and_not1_saveexec_b32 s18, s18
	s_cbranch_execz .LBB6_106
; %bb.105:                              ;   in Loop: Header=BB6_70 Depth=1
	global_wb scope:SCOPE_DEV
	s_wait_storecnt 0x0
	s_wait_loadcnt_dscnt 0x0
	global_inv scope:SCOPE_DEV
	s_barrier_signal -1
	s_barrier_wait -1
.LBB6_106:                              ;   in Loop: Header=BB6_70 Depth=1
	s_or_b32 exec_lo, exec_lo, s18
.LBB6_107:                              ;   in Loop: Header=BB6_70 Depth=1
	s_delay_alu instid0(SALU_CYCLE_1) | instskip(SKIP_2) | instid1(VALU_DEP_1)
	s_or_b32 exec_lo, exec_lo, s9
	v_dual_sub_nc_u32 v48, v1, v54 :: v_dual_mov_b32 v96, v0
	s_mov_b32 s18, exec_lo
	v_cmpx_lt_i32_e32 0, v48
	s_cbranch_execnz .LBB6_134
; %bb.108:                              ;   in Loop: Header=BB6_70 Depth=1
	s_or_b32 exec_lo, exec_lo, s18
	s_and_saveexec_b32 s9, s5
	s_cbranch_execnz .LBB6_199
.LBB6_109:                              ;   in Loop: Header=BB6_70 Depth=1
	s_or_b32 exec_lo, exec_lo, s9
	s_and_saveexec_b32 s9, s8
	s_cbranch_execz .LBB6_111
.LBB6_110:                              ;   in Loop: Header=BB6_70 Depth=1
	v_add_nc_u64_e32 v[28:29], 1, v[28:29]
	global_wb scope:SCOPE_SYS
	s_wait_storecnt 0x0
	s_wait_loadcnt_dscnt 0x0
	flat_store_b64 v[32:33], v[28:29] scope:SCOPE_SYS
.LBB6_111:                              ;   in Loop: Header=BB6_70 Depth=1
	s_wait_xcnt 0x0
	s_or_b32 exec_lo, exec_lo, s9
	v_and_b32_e32 v48, 0x7ffffff8, v26
	v_cmp_gt_i32_e64 s9, s14, v96
	s_delay_alu instid0(VALU_DEP_2) | instskip(SKIP_1) | instid1(SALU_CYCLE_1)
	v_cmp_eq_u64_e32 vcc_lo, 0x7ffffff8, v[48:49]
	s_and_b32 s18, vcc_lo, s9
	s_and_saveexec_b32 s9, s18
	s_cbranch_execz .LBB6_114
; %bb.112:                              ;   in Loop: Header=BB6_70 Depth=1
	v_dual_ashrrev_i32 v97, 31, v96 :: v_dual_bitop2_b32 v1, 7, v26 bitop3:0x40
	s_mov_b32 s18, 0
	s_delay_alu instid0(VALU_DEP_1) | instskip(NEXT) | instid1(VALU_DEP_1)
	v_mul_lo_u32 v10, v1, s14
	v_ashrrev_i32_e32 v11, 31, v10
	s_delay_alu instid0(VALU_DEP_1) | instskip(NEXT) | instid1(VALU_DEP_1)
	v_lshlrev_b64_e32 v[10:11], 4, v[10:11]
	v_lshl_add_u64 v[10:11], v[96:97], 4, v[10:11]
	s_delay_alu instid0(VALU_DEP_1)
	v_add_nc_u64_e32 v[98:99], v[24:25], v[10:11]
	v_dual_mov_b32 v10, v49 :: v_dual_add_nc_u32 v11, 1, v26
.LBB6_113:                              ;   Parent Loop BB6_70 Depth=1
                                        ; =>  This Inner Loop Header: Depth=2
	s_delay_alu instid0(VALU_DEP_1) | instskip(NEXT) | instid1(VALU_DEP_2)
	v_dual_mov_b32 v12, v10 :: v_dual_add_nc_u32 v96, v96, v2
	v_mov_b32_e32 v13, v11
	s_delay_alu instid0(VALU_DEP_2) | instskip(SKIP_4) | instid1(SALU_CYCLE_1)
	v_cmp_le_i32_e32 vcc_lo, s14, v96
	global_store_b128 v[98:99], v[10:13], off
	s_wait_xcnt 0x0
	v_add_nc_u64_e32 v[98:99], v[98:99], v[82:83]
	s_or_b32 s18, vcc_lo, s18
	s_and_not1_b32 exec_lo, exec_lo, s18
	s_cbranch_execnz .LBB6_113
.LBB6_114:                              ;   in Loop: Header=BB6_70 Depth=1
	s_or_b32 exec_lo, exec_lo, s9
	v_add_nc_u64_e32 v[22:23], 1, v[22:23]
	v_add_nc_u64_e32 v[26:27], 1, v[26:27]
                                        ; implicit-def: $vgpr1
                                        ; implicit-def: $vgpr10_vgpr11
.LBB6_115:                              ;   in Loop: Header=BB6_70 Depth=1
	s_and_not1_saveexec_b32 s17, s17
	s_cbranch_execz .LBB6_133
; %bb.116:                              ;   in Loop: Header=BB6_70 Depth=1
	v_sub_nc_u32_e32 v1, v1, v54
	s_mov_b32 s18, exec_lo
	s_delay_alu instid0(VALU_DEP_1)
	v_cmpx_lt_i32_e32 0, v1
	s_cbranch_execnz .LBB6_166
; %bb.117:                              ;   in Loop: Header=BB6_70 Depth=1
	s_or_b32 exec_lo, exec_lo, s18
	s_and_saveexec_b32 s9, s5
	s_cbranch_execnz .LBB6_211
.LBB6_118:                              ;   in Loop: Header=BB6_70 Depth=1
	s_or_b32 exec_lo, exec_lo, s9
	s_and_saveexec_b32 s9, s8
	s_cbranch_execz .LBB6_120
.LBB6_119:                              ;   in Loop: Header=BB6_70 Depth=1
	v_add_nc_u64_e32 v[28:29], 1, v[28:29]
	global_wb scope:SCOPE_SYS
	s_wait_storecnt 0x0
	s_wait_loadcnt_dscnt 0x0
	flat_store_b64 v[32:33], v[28:29] scope:SCOPE_SYS
.LBB6_120:                              ;   in Loop: Header=BB6_70 Depth=1
	s_wait_xcnt 0x0
	s_or_b32 exec_lo, exec_lo, s9
	v_add_nc_u64_e32 v[22:23], 1, v[22:23]
	s_or_b32 exec_lo, exec_lo, s17
                                        ; implicit-def: $vgpr1
.LBB6_121:                              ;   in Loop: Header=BB6_70 Depth=1
	s_and_not1_saveexec_b32 s16, s16
	s_cbranch_execz .LBB6_69
.LBB6_122:                              ;   in Loop: Header=BB6_70 Depth=1
	s_wait_loadcnt 0x0
	v_add_nc_u32_e32 v10, 7, v1
	s_delay_alu instid0(VALU_DEP_1) | instskip(NEXT) | instid1(VALU_DEP_1)
	v_ashrrev_i32_e32 v11, 31, v10
	v_lshrrev_b32_e32 v11, 29, v11
	s_delay_alu instid0(VALU_DEP_1) | instskip(NEXT) | instid1(VALU_DEP_1)
	v_add_nc_u32_e32 v10, v10, v11
	v_ashrrev_i32_e32 v12, 3, v10
	s_and_saveexec_b32 s9, s15
	s_delay_alu instid0(SALU_CYCLE_1)
	s_xor_b32 s17, exec_lo, s9
	s_cbranch_execz .LBB6_291
; %bb.123:                              ;   in Loop: Header=BB6_70 Depth=1
	s_and_saveexec_b32 s18, s3
	s_cbranch_execz .LBB6_228
; %bb.124:                              ;   in Loop: Header=BB6_70 Depth=1
	v_add_nc_u64_e32 v[10:11], 1, v[8:9]
	s_wait_dscnt 0x0
	v_add_nc_u64_e32 v[96:97], 8, v[52:53]
	s_mov_b32 s19, exec_lo
	s_delay_alu instid0(VALU_DEP_1)
	v_cmpx_lt_u64_e64 v[96:97], v[10:11]
	s_cbranch_execz .LBB6_225
; %bb.125:                              ;   in Loop: Header=BB6_70 Depth=1
	s_mov_b32 s20, 0
	s_mov_b32 s24, 0
	v_cmp_eq_u32_e32 vcc_lo, 0, v116
                                        ; implicit-def: $sgpr21
                                        ; implicit-def: $sgpr22
                                        ; implicit-def: $sgpr23
	s_branch .LBB6_128
.LBB6_126:                              ;   in Loop: Header=BB6_128 Depth=2
	s_or_b32 exec_lo, exec_lo, s29
	s_delay_alu instid0(SALU_CYCLE_1)
	s_and_not1_b32 s9, s23, exec_lo
	s_and_b32 s23, s27, exec_lo
	s_and_not1_b32 s22, s22, exec_lo
	s_and_b32 s26, s26, exec_lo
	s_or_b32 s23, s9, s23
	s_or_b32 s22, s22, s26
.LBB6_127:                              ;   in Loop: Header=BB6_128 Depth=2
	s_or_b32 exec_lo, exec_lo, s25
	s_delay_alu instid0(SALU_CYCLE_1) | instskip(NEXT) | instid1(SALU_CYCLE_1)
	s_and_b32 s9, exec_lo, s22
	s_or_b32 s20, s9, s20
	s_and_not1_b32 s9, s21, exec_lo
	s_and_b32 s21, s23, exec_lo
	s_delay_alu instid0(SALU_CYCLE_1)
	s_or_b32 s21, s9, s21
	s_and_not1_b32 exec_lo, exec_lo, s20
	s_cbranch_execz .LBB6_222
.LBB6_128:                              ;   Parent Loop BB6_70 Depth=1
                                        ; =>  This Inner Loop Header: Depth=2
	s_sleep 1
	s_wait_loadcnt_dscnt 0x0
	flat_load_b64 v[52:53], v[34:35] scope:SCOPE_DEV
	v_mov_b32_e32 v116, 1
	s_or_b32 s23, s23, exec_lo
	s_or_b32 s22, s22, exec_lo
                                        ; implicit-def: $vgpr9
	s_wait_xcnt 0x0
	s_and_saveexec_b32 s25, vcc_lo
	s_cbranch_execz .LBB6_127
; %bb.129:                              ;   in Loop: Header=BB6_128 Depth=2
	s_add_co_i32 s24, s24, 1
	s_mov_b32 s26, -1
	s_cmp_lg_u32 s24, 0x2710
	s_mov_b32 s27, -1
	s_cselect_b32 s28, -1, 0
	s_cmp_eq_u32 s24, 0x2710
                                        ; implicit-def: $vgpr9
	s_cbranch_scc1 .LBB6_131
; %bb.130:                              ;   in Loop: Header=BB6_128 Depth=2
	v_mov_b32_e32 v116, 1
	s_and_saveexec_b32 s29, s28
	s_cbranch_execz .LBB6_126
	s_branch .LBB6_132
.LBB6_131:                              ;   in Loop: Header=BB6_128 Depth=2
	s_trap 2
	ds_load_b64 v[96:97], v0
	s_and_not1_b32 s24, s28, exec_lo
	s_mov_b32 s27, 0
	s_wait_storecnt 0x0
	s_wait_loadcnt_dscnt 0x0
	flat_load_b32 v9, v[96:97] scope:SCOPE_SYS
	s_wait_loadcnt_dscnt 0x0
	global_inv scope:SCOPE_SYS
	v_cmp_eq_u32_e64 s9, 0, v9
	s_and_b32 s9, s9, exec_lo
	s_delay_alu instid0(SALU_CYCLE_1)
	s_or_b32 s28, s24, s9
	s_mov_b32 s24, 0
	v_mov_b32_e32 v116, 1
	s_and_saveexec_b32 s29, s28
	s_cbranch_execz .LBB6_126
.LBB6_132:                              ;   in Loop: Header=BB6_128 Depth=2
	s_wait_loadcnt_dscnt 0x0
	v_add_nc_u64_e32 v[96:97], 8, v[52:53]
	v_mov_b32_e32 v116, 0
	s_or_b32 s27, s27, exec_lo
	s_delay_alu instid0(VALU_DEP_2)
	v_cmp_ge_u64_e64 s9, v[96:97], v[10:11]
	s_or_not1_b32 s26, s9, exec_lo
	s_branch .LBB6_126
.LBB6_133:                              ;   in Loop: Header=BB6_70 Depth=1
	s_or_b32 exec_lo, exec_lo, s17
                                        ; implicit-def: $vgpr1
	s_and_not1_saveexec_b32 s16, s16
	s_cbranch_execz .LBB6_69
	s_branch .LBB6_122
.LBB6_134:                              ;   in Loop: Header=BB6_70 Depth=1
	v_and_b32_e32 v1, 7, v22
	v_and_b32_e32 v13, 7, v26
	v_add_nc_u64_e32 v[98:99], v[70:71], v[10:11]
	v_add_nc_u32_e32 v117, 1, v22
	s_mov_b32 s19, 0
	v_mul_lo_u32 v12, v1, s14
	v_mul_lo_u32 v96, v13, s14
	s_delay_alu instid0(VALU_DEP_2) | instskip(NEXT) | instid1(VALU_DEP_2)
	v_dual_add_nc_u32 v1, 1, v26 :: v_dual_ashrrev_i32 v13, 31, v12
	v_ashrrev_i32_e32 v97, 31, v96
	s_delay_alu instid0(VALU_DEP_2) | instskip(NEXT) | instid1(VALU_DEP_2)
	v_lshl_add_u64 v[100:101], v[12:13], 4, v[20:21]
	v_lshl_add_u64 v[102:103], v[96:97], 4, v[24:25]
	v_mov_b32_e32 v96, v0
	s_branch .LBB6_136
.LBB6_135:                              ;   in Loop: Header=BB6_136 Depth=2
	v_sub_nc_u32_e32 v48, v48, v68
	s_wait_xcnt 0x0
	v_add_nc_u64_e32 v[98:99], v[98:99], v[68:69]
	v_add_nc_u32_e32 v96, v96, v2
	s_delay_alu instid0(VALU_DEP_3) | instskip(SKIP_1) | instid1(SALU_CYCLE_1)
	v_cmp_gt_i32_e32 vcc_lo, 1, v48
	s_or_b32 s19, vcc_lo, s19
	s_and_not1_b32 exec_lo, exec_lo, s19
	s_cbranch_execz .LBB6_198
.LBB6_136:                              ;   Parent Loop BB6_70 Depth=1
                                        ; =>  This Loop Header: Depth=2
                                        ;       Child Loop BB6_140 Depth 3
	s_delay_alu instid0(VALU_DEP_1) | instskip(SKIP_2) | instid1(VALU_DEP_3)
	v_ashrrev_i32_e32 v97, 31, v96
	v_cmp_eq_u32_e32 vcc_lo, 0, v116
	v_mov_b32_e32 v116, 1
	v_lshl_add_u64 v[112:113], v[96:97], 4, v[100:101]
	global_load_b128 v[10:13], v[112:113], off th:TH_LOAD_NT
	s_wait_xcnt 0x0
	s_and_saveexec_b32 s20, vcc_lo
	s_cbranch_execz .LBB6_148
; %bb.137:                              ;   in Loop: Header=BB6_136 Depth=2
	s_wait_loadcnt 0x0
	v_cmp_ne_u32_e32 vcc_lo, v117, v11
	v_cmp_ne_u32_e64 s9, v117, v13
	v_mov_b32_e32 v116, 0
	s_or_b32 s9, vcc_lo, s9
	s_delay_alu instid0(SALU_CYCLE_1)
	s_and_saveexec_b32 s21, s9
	s_cbranch_execz .LBB6_147
; %bb.138:                              ;   in Loop: Header=BB6_136 Depth=2
	s_mov_b32 s25, 1
	s_mov_b32 s23, 0
                                        ; implicit-def: $sgpr22
                                        ; implicit-def: $sgpr24
	s_branch .LBB6_140
.LBB6_139:                              ;   in Loop: Header=BB6_140 Depth=3
	s_or_b32 exec_lo, exec_lo, s27
	s_delay_alu instid0(SALU_CYCLE_1) | instskip(NEXT) | instid1(SALU_CYCLE_1)
	s_and_b32 s9, exec_lo, s9
	s_or_b32 s23, s9, s23
	s_and_not1_b32 s9, s22, exec_lo
	s_and_b32 s22, s24, exec_lo
	s_delay_alu instid0(SALU_CYCLE_1)
	s_or_b32 s22, s9, s22
	s_and_not1_b32 exec_lo, exec_lo, s23
	s_cbranch_execz .LBB6_144
.LBB6_140:                              ;   Parent Loop BB6_70 Depth=1
                                        ;     Parent Loop BB6_136 Depth=2
                                        ; =>    This Inner Loop Header: Depth=3
	s_wait_loadcnt 0x0
	global_load_b128 v[10:13], v[112:113], off th:TH_LOAD_NT
	s_add_co_i32 s25, s25, 1
	s_mov_b32 s9, -1
	s_cmp_lg_u32 s25, 0x2710
	s_mov_b32 s26, -1
                                        ; implicit-def: $vgpr118
	s_cbranch_scc0 .LBB6_142
; %bb.141:                              ;   in Loop: Header=BB6_140 Depth=3
	s_or_b32 s24, s24, exec_lo
	s_wait_xcnt 0x0
	s_and_saveexec_b32 s27, s26
	s_cbranch_execz .LBB6_139
	s_branch .LBB6_143
.LBB6_142:                              ;   in Loop: Header=BB6_140 Depth=3
	s_trap 2
	ds_load_b64 v[118:119], v0
	s_mov_b32 s25, 0
	s_wait_storecnt 0x0
	s_wait_loadcnt_dscnt 0x0
	flat_load_b32 v118, v[118:119] scope:SCOPE_SYS
	s_wait_loadcnt_dscnt 0x0
	global_inv scope:SCOPE_SYS
	v_cmp_eq_u32_e32 vcc_lo, 0, v118
	s_or_not1_b32 s26, vcc_lo, exec_lo
	s_or_b32 s24, s24, exec_lo
	s_and_saveexec_b32 s27, s26
	s_cbranch_execz .LBB6_139
.LBB6_143:                              ;   in Loop: Header=BB6_140 Depth=3
	s_wait_loadcnt 0x0
	v_cmp_eq_u32_e32 vcc_lo, v117, v11
	v_cmp_eq_u32_e64 s9, v117, v13
	s_and_not1_b32 s24, s24, exec_lo
	s_and_b32 s9, vcc_lo, s9
	s_delay_alu instid0(SALU_CYCLE_1)
	s_or_not1_b32 s9, s9, exec_lo
	s_branch .LBB6_139
.LBB6_144:                              ;   in Loop: Header=BB6_136 Depth=2
	s_or_b32 exec_lo, exec_lo, s23
	v_mov_b32_e32 v116, 0
	s_and_saveexec_b32 s9, s22
	s_delay_alu instid0(SALU_CYCLE_1)
	s_xor_b32 s9, exec_lo, s9
	s_cbranch_execz .LBB6_146
; %bb.145:                              ;   in Loop: Header=BB6_136 Depth=2
	v_mov_b32_e32 v116, 1
	s_wait_storecnt 0x0
	s_wait_loadcnt_dscnt 0x0
	ds_store_b32 v0, v118
	s_trap 2
.LBB6_146:                              ;   in Loop: Header=BB6_136 Depth=2
	s_or_b32 exec_lo, exec_lo, s9
.LBB6_147:                              ;   in Loop: Header=BB6_136 Depth=2
	s_delay_alu instid0(SALU_CYCLE_1)
	s_or_b32 exec_lo, exec_lo, s21
.LBB6_148:                              ;   in Loop: Header=BB6_136 Depth=2
	s_delay_alu instid0(SALU_CYCLE_1)
	s_or_b32 exec_lo, exec_lo, s20
	v_cmp_lt_u32_e32 vcc_lo, 7, v48
	v_lshl_add_u64 v[112:113], v[96:97], 4, v[102:103]
	s_wait_loadcnt 0x0
	v_dual_mov_b32 v11, v1 :: v_dual_mov_b32 v13, v1
	s_mov_b32 s9, -1
	s_cmp_lg_u32 vcc_lo, exec_lo
	global_store_b128 v[112:113], v[10:13], off
	s_cbranch_scc0 .LBB6_164
; %bb.149:                              ;   in Loop: Header=BB6_136 Depth=2
	s_mov_b32 s20, exec_lo
	flat_store_b8 v[98:99], v10
	s_wait_xcnt 0x0
	v_cmpx_ne_u32_e32 1, v48
	s_cbranch_execz .LBB6_151
; %bb.150:                              ;   in Loop: Header=BB6_136 Depth=2
	v_lshrrev_b32_e32 v11, 8, v10
	flat_store_b8 v[98:99], v11 offset:1
.LBB6_151:                              ;   in Loop: Header=BB6_136 Depth=2
	s_wait_xcnt 0x0
	s_or_b32 exec_lo, exec_lo, s20
	s_delay_alu instid0(SALU_CYCLE_1)
	s_mov_b32 s20, exec_lo
	v_cmpx_lt_u32_e32 2, v48
	s_cbranch_execz .LBB6_153
; %bb.152:                              ;   in Loop: Header=BB6_136 Depth=2
	flat_store_d16_hi_b8 v[98:99], v10 offset:2
.LBB6_153:                              ;   in Loop: Header=BB6_136 Depth=2
	s_wait_xcnt 0x0
	s_or_b32 exec_lo, exec_lo, s20
	s_delay_alu instid0(SALU_CYCLE_1)
	s_mov_b32 s20, exec_lo
	v_cmpx_lt_u32_e32 3, v48
	s_cbranch_execz .LBB6_155
; %bb.154:                              ;   in Loop: Header=BB6_136 Depth=2
	v_lshrrev_b32_e32 v11, 24, v10
	flat_store_b8 v[98:99], v11 offset:3
.LBB6_155:                              ;   in Loop: Header=BB6_136 Depth=2
	s_wait_xcnt 0x0
	s_or_b32 exec_lo, exec_lo, s20
	s_delay_alu instid0(SALU_CYCLE_1)
	s_mov_b32 s20, exec_lo
	v_cmpx_lt_u32_e32 4, v48
	s_cbranch_execz .LBB6_157
; %bb.156:                              ;   in Loop: Header=BB6_136 Depth=2
	flat_store_b8 v[98:99], v12 offset:4
.LBB6_157:                              ;   in Loop: Header=BB6_136 Depth=2
	s_wait_xcnt 0x0
	s_or_b32 exec_lo, exec_lo, s20
	s_delay_alu instid0(SALU_CYCLE_1)
	s_mov_b32 s20, exec_lo
	v_cmpx_lt_u32_e32 5, v48
	s_cbranch_execz .LBB6_159
; %bb.158:                              ;   in Loop: Header=BB6_136 Depth=2
	v_lshrrev_b32_e32 v11, 8, v12
	flat_store_b8 v[98:99], v11 offset:5
.LBB6_159:                              ;   in Loop: Header=BB6_136 Depth=2
	s_wait_xcnt 0x0
	s_or_b32 exec_lo, exec_lo, s20
	s_delay_alu instid0(SALU_CYCLE_1)
	s_mov_b32 s20, exec_lo
	v_cmpx_lt_u32_e32 6, v48
	s_cbranch_execz .LBB6_161
; %bb.160:                              ;   in Loop: Header=BB6_136 Depth=2
	flat_store_d16_hi_b8 v[98:99], v12 offset:6
.LBB6_161:                              ;   in Loop: Header=BB6_136 Depth=2
	s_wait_xcnt 0x0
	s_or_b32 exec_lo, exec_lo, s20
	s_and_saveexec_b32 s9, vcc_lo
	s_cbranch_execz .LBB6_163
; %bb.162:                              ;   in Loop: Header=BB6_136 Depth=2
	v_lshrrev_b32_e32 v11, 24, v12
	flat_store_b8 v[98:99], v11 offset:7
.LBB6_163:                              ;   in Loop: Header=BB6_136 Depth=2
	s_wait_xcnt 0x0
	s_or_b32 exec_lo, exec_lo, s9
	s_mov_b32 s9, 0
.LBB6_164:                              ;   in Loop: Header=BB6_136 Depth=2
	s_delay_alu instid0(SALU_CYCLE_1)
	s_and_b32 vcc_lo, exec_lo, s9
	s_cbranch_vccz .LBB6_135
; %bb.165:                              ;   in Loop: Header=BB6_136 Depth=2
	s_wait_xcnt 0x0
	v_mov_b32_e32 v11, v12
	global_store_b64 v[98:99], v[10:11], off
	s_branch .LBB6_135
.LBB6_166:                              ;   in Loop: Header=BB6_70 Depth=1
	v_dual_add_nc_u32 v48, 1, v22 :: v_dual_bitop2_b32 v12, 7, v22 bitop3:0x40
	v_add_nc_u64_e32 v[96:97], v[70:71], v[10:11]
	s_mov_b32 s19, 0
	v_mov_b32_e32 v100, v0
	s_delay_alu instid0(VALU_DEP_3) | instskip(NEXT) | instid1(VALU_DEP_1)
	v_mul_lo_u32 v12, v12, s14
	v_ashrrev_i32_e32 v13, 31, v12
	s_delay_alu instid0(VALU_DEP_1)
	v_lshl_add_u64 v[98:99], v[12:13], 4, v[20:21]
	s_branch .LBB6_168
.LBB6_167:                              ;   in Loop: Header=BB6_168 Depth=2
	v_dual_sub_nc_u32 v1, v1, v68 :: v_dual_add_nc_u32 v100, v100, v2
	s_wait_xcnt 0x0
	v_add_nc_u64_e32 v[96:97], v[96:97], v[68:69]
	s_delay_alu instid0(VALU_DEP_2) | instskip(SKIP_1) | instid1(SALU_CYCLE_1)
	v_cmp_gt_i32_e32 vcc_lo, 1, v1
	s_or_b32 s19, vcc_lo, s19
	s_and_not1_b32 exec_lo, exec_lo, s19
	s_cbranch_execz .LBB6_210
.LBB6_168:                              ;   Parent Loop BB6_70 Depth=1
                                        ; =>  This Loop Header: Depth=2
                                        ;       Child Loop BB6_172 Depth 3
	v_ashrrev_i32_e32 v101, 31, v100
	v_cmp_eq_u32_e32 vcc_lo, 0, v116
	v_mov_b32_e32 v116, 1
	s_delay_alu instid0(VALU_DEP_3)
	v_lshl_add_u64 v[102:103], v[100:101], 4, v[98:99]
	s_wait_loadcnt 0x0
	global_load_b128 v[10:13], v[102:103], off th:TH_LOAD_NT
	s_wait_xcnt 0x0
	s_and_saveexec_b32 s20, vcc_lo
	s_cbranch_execz .LBB6_180
; %bb.169:                              ;   in Loop: Header=BB6_168 Depth=2
	s_wait_loadcnt 0x0
	v_cmp_ne_u32_e32 vcc_lo, v48, v11
	v_cmp_ne_u32_e64 s9, v48, v13
	v_mov_b32_e32 v116, 0
	s_or_b32 s9, vcc_lo, s9
	s_delay_alu instid0(SALU_CYCLE_1)
	s_and_saveexec_b32 s21, s9
	s_cbranch_execz .LBB6_179
; %bb.170:                              ;   in Loop: Header=BB6_168 Depth=2
	s_mov_b32 s25, 1
	s_mov_b32 s23, 0
                                        ; implicit-def: $sgpr22
                                        ; implicit-def: $sgpr24
	s_branch .LBB6_172
.LBB6_171:                              ;   in Loop: Header=BB6_172 Depth=3
	s_or_b32 exec_lo, exec_lo, s27
	s_delay_alu instid0(SALU_CYCLE_1) | instskip(NEXT) | instid1(SALU_CYCLE_1)
	s_and_b32 s9, exec_lo, s9
	s_or_b32 s23, s9, s23
	s_and_not1_b32 s9, s22, exec_lo
	s_and_b32 s22, s24, exec_lo
	s_delay_alu instid0(SALU_CYCLE_1)
	s_or_b32 s22, s9, s22
	s_and_not1_b32 exec_lo, exec_lo, s23
	s_cbranch_execz .LBB6_176
.LBB6_172:                              ;   Parent Loop BB6_70 Depth=1
                                        ;     Parent Loop BB6_168 Depth=2
                                        ; =>    This Inner Loop Header: Depth=3
	s_wait_loadcnt 0x0
	global_load_b128 v[10:13], v[102:103], off th:TH_LOAD_NT
	s_add_co_i32 s25, s25, 1
	s_mov_b32 s9, -1
	s_cmp_lg_u32 s25, 0x2710
	s_mov_b32 s26, -1
                                        ; implicit-def: $vgpr101
	s_cbranch_scc0 .LBB6_174
; %bb.173:                              ;   in Loop: Header=BB6_172 Depth=3
	s_or_b32 s24, s24, exec_lo
	s_wait_xcnt 0x0
	s_and_saveexec_b32 s27, s26
	s_cbranch_execz .LBB6_171
	s_branch .LBB6_175
.LBB6_174:                              ;   in Loop: Header=BB6_172 Depth=3
	s_trap 2
	ds_load_b64 v[112:113], v0
	s_mov_b32 s25, 0
	s_wait_storecnt 0x0
	s_wait_loadcnt_dscnt 0x0
	flat_load_b32 v101, v[112:113] scope:SCOPE_SYS
	s_wait_loadcnt_dscnt 0x0
	global_inv scope:SCOPE_SYS
	v_cmp_eq_u32_e32 vcc_lo, 0, v101
	s_or_not1_b32 s26, vcc_lo, exec_lo
	s_or_b32 s24, s24, exec_lo
	s_and_saveexec_b32 s27, s26
	s_cbranch_execz .LBB6_171
.LBB6_175:                              ;   in Loop: Header=BB6_172 Depth=3
	s_wait_loadcnt 0x0
	v_cmp_eq_u32_e32 vcc_lo, v48, v11
	v_cmp_eq_u32_e64 s9, v48, v13
	s_and_not1_b32 s24, s24, exec_lo
	s_and_b32 s9, vcc_lo, s9
	s_delay_alu instid0(SALU_CYCLE_1)
	s_or_not1_b32 s9, s9, exec_lo
	s_branch .LBB6_171
.LBB6_176:                              ;   in Loop: Header=BB6_168 Depth=2
	s_or_b32 exec_lo, exec_lo, s23
	v_mov_b32_e32 v116, 0
	s_and_saveexec_b32 s9, s22
	s_delay_alu instid0(SALU_CYCLE_1)
	s_xor_b32 s9, exec_lo, s9
	s_cbranch_execz .LBB6_178
; %bb.177:                              ;   in Loop: Header=BB6_168 Depth=2
	v_mov_b32_e32 v116, 1
	s_wait_storecnt 0x0
	s_wait_loadcnt_dscnt 0x0
	ds_store_b32 v0, v101
	s_trap 2
.LBB6_178:                              ;   in Loop: Header=BB6_168 Depth=2
	s_or_b32 exec_lo, exec_lo, s9
.LBB6_179:                              ;   in Loop: Header=BB6_168 Depth=2
	s_delay_alu instid0(SALU_CYCLE_1)
	s_or_b32 exec_lo, exec_lo, s21
.LBB6_180:                              ;   in Loop: Header=BB6_168 Depth=2
	s_delay_alu instid0(SALU_CYCLE_1)
	s_or_b32 exec_lo, exec_lo, s20
	v_cmp_lt_u32_e32 vcc_lo, 7, v1
	s_mov_b32 s9, -1
	s_cmp_lg_u32 vcc_lo, exec_lo
	s_cbranch_scc0 .LBB6_196
; %bb.181:                              ;   in Loop: Header=BB6_168 Depth=2
	s_mov_b32 s20, exec_lo
	s_wait_loadcnt 0x0
	flat_store_b8 v[96:97], v10
	s_wait_xcnt 0x0
	v_cmpx_ne_u32_e32 1, v1
	s_cbranch_execz .LBB6_183
; %bb.182:                              ;   in Loop: Header=BB6_168 Depth=2
	v_lshrrev_b32_e32 v11, 8, v10
	flat_store_b8 v[96:97], v11 offset:1
.LBB6_183:                              ;   in Loop: Header=BB6_168 Depth=2
	s_wait_xcnt 0x0
	s_or_b32 exec_lo, exec_lo, s20
	s_delay_alu instid0(SALU_CYCLE_1)
	s_mov_b32 s20, exec_lo
	v_cmpx_lt_u32_e32 2, v1
	s_cbranch_execz .LBB6_185
; %bb.184:                              ;   in Loop: Header=BB6_168 Depth=2
	flat_store_d16_hi_b8 v[96:97], v10 offset:2
.LBB6_185:                              ;   in Loop: Header=BB6_168 Depth=2
	s_wait_xcnt 0x0
	s_or_b32 exec_lo, exec_lo, s20
	s_delay_alu instid0(SALU_CYCLE_1)
	s_mov_b32 s20, exec_lo
	v_cmpx_lt_u32_e32 3, v1
	s_cbranch_execz .LBB6_187
; %bb.186:                              ;   in Loop: Header=BB6_168 Depth=2
	v_lshrrev_b32_e32 v11, 24, v10
	flat_store_b8 v[96:97], v11 offset:3
.LBB6_187:                              ;   in Loop: Header=BB6_168 Depth=2
	s_wait_xcnt 0x0
	s_or_b32 exec_lo, exec_lo, s20
	s_delay_alu instid0(SALU_CYCLE_1)
	s_mov_b32 s20, exec_lo
	v_cmpx_lt_u32_e32 4, v1
	s_cbranch_execz .LBB6_189
; %bb.188:                              ;   in Loop: Header=BB6_168 Depth=2
	flat_store_b8 v[96:97], v12 offset:4
.LBB6_189:                              ;   in Loop: Header=BB6_168 Depth=2
	s_wait_xcnt 0x0
	s_or_b32 exec_lo, exec_lo, s20
	s_delay_alu instid0(SALU_CYCLE_1)
	s_mov_b32 s20, exec_lo
	v_cmpx_lt_u32_e32 5, v1
	s_cbranch_execz .LBB6_191
; %bb.190:                              ;   in Loop: Header=BB6_168 Depth=2
	v_lshrrev_b32_e32 v11, 8, v12
	flat_store_b8 v[96:97], v11 offset:5
.LBB6_191:                              ;   in Loop: Header=BB6_168 Depth=2
	s_wait_xcnt 0x0
	s_or_b32 exec_lo, exec_lo, s20
	s_delay_alu instid0(SALU_CYCLE_1)
	s_mov_b32 s20, exec_lo
	v_cmpx_lt_u32_e32 6, v1
	s_cbranch_execz .LBB6_193
; %bb.192:                              ;   in Loop: Header=BB6_168 Depth=2
	flat_store_d16_hi_b8 v[96:97], v12 offset:6
.LBB6_193:                              ;   in Loop: Header=BB6_168 Depth=2
	s_wait_xcnt 0x0
	s_or_b32 exec_lo, exec_lo, s20
	s_and_saveexec_b32 s9, vcc_lo
	s_cbranch_execz .LBB6_195
; %bb.194:                              ;   in Loop: Header=BB6_168 Depth=2
	v_lshrrev_b32_e32 v11, 24, v12
	flat_store_b8 v[96:97], v11 offset:7
.LBB6_195:                              ;   in Loop: Header=BB6_168 Depth=2
	s_wait_xcnt 0x0
	s_or_b32 exec_lo, exec_lo, s9
	s_mov_b32 s9, 0
.LBB6_196:                              ;   in Loop: Header=BB6_168 Depth=2
	s_delay_alu instid0(SALU_CYCLE_1)
	s_and_b32 vcc_lo, exec_lo, s9
	s_cbranch_vccz .LBB6_167
; %bb.197:                              ;   in Loop: Header=BB6_168 Depth=2
	s_wait_loadcnt 0x0
	v_mov_b32_e32 v11, v12
	global_store_b64 v[96:97], v[10:11], off
	s_branch .LBB6_167
.LBB6_198:                              ;   in Loop: Header=BB6_70 Depth=1
	s_or_b32 exec_lo, exec_lo, s19
	s_delay_alu instid0(SALU_CYCLE_1)
	s_or_b32 exec_lo, exec_lo, s18
	s_and_saveexec_b32 s9, s5
	s_cbranch_execz .LBB6_109
.LBB6_199:                              ;   in Loop: Header=BB6_70 Depth=1
	s_and_saveexec_b32 s18, s6
	s_delay_alu instid0(SALU_CYCLE_1)
	s_xor_b32 s18, exec_lo, s18
	s_cbranch_execz .LBB6_244
; %bb.200:                              ;   in Loop: Header=BB6_70 Depth=1
	s_and_saveexec_b32 s19, s7
	s_cbranch_execz .LBB6_243
; %bb.201:                              ;   in Loop: Header=BB6_70 Depth=1
	s_mov_b32 s21, exec_lo
	s_mov_b32 s20, exec_lo
	v_mbcnt_lo_u32_b32 v1, s21, 0
	global_wb scope:SCOPE_DEV
	s_wait_storecnt 0x0
	s_wait_loadcnt_dscnt 0x0
	global_inv scope:SCOPE_DEV
	v_cmpx_eq_u32_e32 0, v1
	s_cbranch_execz .LBB6_203
; %bb.202:                              ;   in Loop: Header=BB6_70 Depth=1
	s_bcnt1_i32_b32 s21, s21
	s_delay_alu instid0(SALU_CYCLE_1)
	v_mov_b32_e32 v48, s21
	s_wait_loadcnt 0x0
	ds_add_u64 v0, v[48:49]
	s_trap 2
.LBB6_203:                              ;   in Loop: Header=BB6_70 Depth=1
	s_or_b32 exec_lo, exec_lo, s20
	s_trap 2
	ds_load_b64 v[10:11], v0
	s_wait_dscnt 0x0
	v_add_nc_u64_e32 v[36:37], v[36:37], v[66:67]
	s_mov_b32 s20, exec_lo
	s_delay_alu instid0(VALU_DEP_1)
	v_cmpx_lt_u64_e64 v[10:11], v[36:37]
	s_cbranch_execz .LBB6_242
; %bb.204:                              ;   in Loop: Header=BB6_70 Depth=1
	s_mov_b32 s21, 0
	s_mov_b32 s24, 0
                                        ; implicit-def: $sgpr22
                                        ; implicit-def: $sgpr23
	s_branch .LBB6_206
.LBB6_205:                              ;   in Loop: Header=BB6_206 Depth=2
	s_or_b32 exec_lo, exec_lo, s26
	s_delay_alu instid0(SALU_CYCLE_1) | instskip(NEXT) | instid1(SALU_CYCLE_1)
	s_and_b32 s25, exec_lo, s27
	s_or_b32 s21, s25, s21
	s_and_not1_b32 s22, s22, exec_lo
	s_and_b32 s25, s23, exec_lo
	s_delay_alu instid0(SALU_CYCLE_1)
	s_or_b32 s22, s22, s25
	s_and_not1_b32 exec_lo, exec_lo, s21
	s_cbranch_execz .LBB6_240
.LBB6_206:                              ;   Parent Loop BB6_70 Depth=1
                                        ; =>  This Inner Loop Header: Depth=2
	s_add_co_i32 s24, s24, 1
	s_delay_alu instid0(SALU_CYCLE_1) | instskip(SKIP_1) | instid1(SALU_CYCLE_1)
	s_cmp_lg_u32 s24, 0x2710
	s_cselect_b32 s25, -1, 0
	s_and_b32 vcc_lo, exec_lo, s25
	s_cbranch_vccz .LBB6_208
; %bb.207:                              ;   in Loop: Header=BB6_206 Depth=2
	s_mov_b32 s27, -1
	s_or_b32 s23, s23, exec_lo
	s_and_saveexec_b32 s26, s25
	s_cbranch_execz .LBB6_205
	s_branch .LBB6_209
.LBB6_208:                              ;   in Loop: Header=BB6_206 Depth=2
	s_trap 2
	ds_load_b64 v[10:11], v0
	s_and_not1_b32 s25, s25, exec_lo
	s_mov_b32 s24, 0
	s_wait_loadcnt_dscnt 0x0
	flat_load_b32 v1, v[10:11] scope:SCOPE_SYS
	s_wait_loadcnt_dscnt 0x0
	global_inv scope:SCOPE_SYS
	v_cmp_eq_u32_e32 vcc_lo, 0, v1
	s_and_b32 s26, vcc_lo, exec_lo
	s_delay_alu instid0(SALU_CYCLE_1)
	s_or_b32 s25, s25, s26
	s_mov_b32 s27, -1
	s_or_b32 s23, s23, exec_lo
	s_and_saveexec_b32 s26, s25
	s_cbranch_execz .LBB6_205
.LBB6_209:                              ;   in Loop: Header=BB6_206 Depth=2
	s_sleep 1
	s_trap 2
	ds_load_b64 v[10:11], v0
	s_wait_dscnt 0x0
	s_and_not1_b32 s23, s23, exec_lo
	v_cmp_ge_u64_e32 vcc_lo, v[10:11], v[36:37]
	s_or_not1_b32 s27, vcc_lo, exec_lo
	s_branch .LBB6_205
.LBB6_210:                              ;   in Loop: Header=BB6_70 Depth=1
	s_or_b32 exec_lo, exec_lo, s19
	s_delay_alu instid0(SALU_CYCLE_1)
	s_or_b32 exec_lo, exec_lo, s18
	s_and_saveexec_b32 s9, s5
	s_cbranch_execz .LBB6_118
.LBB6_211:                              ;   in Loop: Header=BB6_70 Depth=1
	s_and_saveexec_b32 s18, s6
	s_delay_alu instid0(SALU_CYCLE_1)
	s_xor_b32 s18, exec_lo, s18
	s_cbranch_execz .LBB6_251
; %bb.212:                              ;   in Loop: Header=BB6_70 Depth=1
	s_and_saveexec_b32 s19, s7
	s_cbranch_execz .LBB6_250
; %bb.213:                              ;   in Loop: Header=BB6_70 Depth=1
	s_mov_b32 s21, exec_lo
	s_mov_b32 s20, exec_lo
	v_mbcnt_lo_u32_b32 v1, s21, 0
	global_wb scope:SCOPE_DEV
	s_wait_storecnt 0x0
	s_wait_loadcnt_dscnt 0x0
	global_inv scope:SCOPE_DEV
	v_cmpx_eq_u32_e32 0, v1
	s_cbranch_execz .LBB6_215
; %bb.214:                              ;   in Loop: Header=BB6_70 Depth=1
	s_bcnt1_i32_b32 s21, s21
	s_delay_alu instid0(SALU_CYCLE_1)
	v_mov_b32_e32 v48, s21
	s_wait_loadcnt 0x0
	ds_add_u64 v0, v[48:49]
	s_trap 2
.LBB6_215:                              ;   in Loop: Header=BB6_70 Depth=1
	s_or_b32 exec_lo, exec_lo, s20
	s_trap 2
	ds_load_b64 v[10:11], v0
	s_wait_dscnt 0x0
	v_add_nc_u64_e32 v[36:37], v[36:37], v[66:67]
	s_mov_b32 s20, exec_lo
	s_delay_alu instid0(VALU_DEP_1)
	v_cmpx_lt_u64_e64 v[10:11], v[36:37]
	s_cbranch_execz .LBB6_249
; %bb.216:                              ;   in Loop: Header=BB6_70 Depth=1
	s_mov_b32 s21, 0
	s_mov_b32 s24, 0
                                        ; implicit-def: $sgpr22
                                        ; implicit-def: $sgpr23
	s_branch .LBB6_218
.LBB6_217:                              ;   in Loop: Header=BB6_218 Depth=2
	s_or_b32 exec_lo, exec_lo, s26
	s_delay_alu instid0(SALU_CYCLE_1) | instskip(NEXT) | instid1(SALU_CYCLE_1)
	s_and_b32 s25, exec_lo, s27
	s_or_b32 s21, s25, s21
	s_and_not1_b32 s22, s22, exec_lo
	s_and_b32 s25, s23, exec_lo
	s_delay_alu instid0(SALU_CYCLE_1)
	s_or_b32 s22, s22, s25
	s_and_not1_b32 exec_lo, exec_lo, s21
	s_cbranch_execz .LBB6_247
.LBB6_218:                              ;   Parent Loop BB6_70 Depth=1
                                        ; =>  This Inner Loop Header: Depth=2
	s_add_co_i32 s24, s24, 1
	s_delay_alu instid0(SALU_CYCLE_1) | instskip(SKIP_1) | instid1(SALU_CYCLE_1)
	s_cmp_lg_u32 s24, 0x2710
	s_cselect_b32 s25, -1, 0
	s_and_b32 vcc_lo, exec_lo, s25
	s_cbranch_vccz .LBB6_220
; %bb.219:                              ;   in Loop: Header=BB6_218 Depth=2
	s_mov_b32 s27, -1
	s_or_b32 s23, s23, exec_lo
	s_and_saveexec_b32 s26, s25
	s_cbranch_execz .LBB6_217
	s_branch .LBB6_221
.LBB6_220:                              ;   in Loop: Header=BB6_218 Depth=2
	s_trap 2
	ds_load_b64 v[10:11], v0
	s_and_not1_b32 s25, s25, exec_lo
	s_mov_b32 s24, 0
	s_wait_loadcnt_dscnt 0x0
	flat_load_b32 v1, v[10:11] scope:SCOPE_SYS
	s_wait_loadcnt_dscnt 0x0
	global_inv scope:SCOPE_SYS
	v_cmp_eq_u32_e32 vcc_lo, 0, v1
	s_and_b32 s26, vcc_lo, exec_lo
	s_delay_alu instid0(SALU_CYCLE_1)
	s_or_b32 s25, s25, s26
	s_mov_b32 s27, -1
	s_or_b32 s23, s23, exec_lo
	s_and_saveexec_b32 s26, s25
	s_cbranch_execz .LBB6_217
.LBB6_221:                              ;   in Loop: Header=BB6_218 Depth=2
	s_sleep 1
	s_trap 2
	ds_load_b64 v[10:11], v0
	s_wait_dscnt 0x0
	s_and_not1_b32 s23, s23, exec_lo
	v_cmp_ge_u64_e32 vcc_lo, v[10:11], v[36:37]
	s_or_not1_b32 s27, vcc_lo, exec_lo
	s_branch .LBB6_217
.LBB6_222:                              ;   in Loop: Header=BB6_70 Depth=1
	s_or_b32 exec_lo, exec_lo, s20
	s_xor_b32 s9, s21, -1
	s_delay_alu instid0(SALU_CYCLE_1) | instskip(NEXT) | instid1(SALU_CYCLE_1)
	s_and_saveexec_b32 s20, s9
	s_xor_b32 s9, exec_lo, s20
	s_cbranch_execz .LBB6_224
; %bb.223:                              ;   in Loop: Header=BB6_70 Depth=1
	v_mov_b32_e32 v116, 1
	s_wait_storecnt 0x0
	s_wait_loadcnt_dscnt 0x0
	ds_store_b32 v0, v9
	s_trap 2
.LBB6_224:                              ;   in Loop: Header=BB6_70 Depth=1
	s_or_b32 exec_lo, exec_lo, s9
.LBB6_225:                              ;   in Loop: Header=BB6_70 Depth=1
	s_delay_alu instid0(SALU_CYCLE_1)
	s_or_b32 exec_lo, exec_lo, s19
	s_and_saveexec_b32 s9, s4
	s_cbranch_execz .LBB6_227
; %bb.226:                              ;   in Loop: Header=BB6_70 Depth=1
	v_and_b32_e32 v48, 0x7ffffff8, v8
	v_and_b32_e32 v8, 7, v8
	s_delay_alu instid0(VALU_DEP_2) | instskip(NEXT) | instid1(VALU_DEP_2)
	v_cmp_eq_u64_e32 vcc_lo, 0x7ffffff8, v[48:49]
	v_mad_nc_u64_u32 v[8:9], v8, 24, v[6:7]
	v_cndmask_b32_e64 v12, v12, s14, vcc_lo
	s_delay_alu instid0(VALU_DEP_1) | instskip(NEXT) | instid1(VALU_DEP_1)
	v_lshlrev_b32_e32 v12, 4, v12
	v_ashrrev_i32_e32 v13, 31, v12
	flat_store_b64 v[8:9], v[12:13] offset:8 scope:SCOPE_SYS
	s_wait_storecnt 0x0
.LBB6_227:                              ;   in Loop: Header=BB6_70 Depth=1
	s_wait_xcnt 0x0
	s_or_b32 exec_lo, exec_lo, s9
	v_mov_b64_e32 v[8:9], v[10:11]
.LBB6_228:                              ;   in Loop: Header=BB6_70 Depth=1
	s_or_b32 exec_lo, exec_lo, s18
	s_and_saveexec_b32 s9, s5
	s_cbranch_execz .LBB6_261
; %bb.229:                              ;   in Loop: Header=BB6_70 Depth=1
	s_and_saveexec_b32 s18, s6
	s_delay_alu instid0(SALU_CYCLE_1)
	s_xor_b32 s18, exec_lo, s18
	s_cbranch_execz .LBB6_258
; %bb.230:                              ;   in Loop: Header=BB6_70 Depth=1
	s_and_saveexec_b32 s19, s7
	s_cbranch_execz .LBB6_257
; %bb.231:                              ;   in Loop: Header=BB6_70 Depth=1
	s_mov_b32 s21, exec_lo
	s_mov_b32 s20, exec_lo
	v_mbcnt_lo_u32_b32 v10, s21, 0
	global_wb scope:SCOPE_DEV
	s_wait_storecnt 0x0
	s_wait_loadcnt_dscnt 0x0
	global_inv scope:SCOPE_DEV
	v_cmpx_eq_u32_e32 0, v10
	s_cbranch_execz .LBB6_233
; %bb.232:                              ;   in Loop: Header=BB6_70 Depth=1
	s_bcnt1_i32_b32 s21, s21
	s_delay_alu instid0(SALU_CYCLE_1)
	v_mov_b32_e32 v48, s21
	s_wait_loadcnt 0x0
	ds_add_u64 v0, v[48:49]
	s_trap 2
.LBB6_233:                              ;   in Loop: Header=BB6_70 Depth=1
	s_or_b32 exec_lo, exec_lo, s20
	s_trap 2
	ds_load_b64 v[10:11], v0
	s_wait_dscnt 0x0
	v_add_nc_u64_e32 v[36:37], v[36:37], v[66:67]
	s_mov_b32 s20, exec_lo
	s_delay_alu instid0(VALU_DEP_1)
	v_cmpx_lt_u64_e64 v[10:11], v[36:37]
	s_cbranch_execz .LBB6_256
; %bb.234:                              ;   in Loop: Header=BB6_70 Depth=1
	s_mov_b32 s21, 0
	s_mov_b32 s24, 0
                                        ; implicit-def: $sgpr22
                                        ; implicit-def: $sgpr23
	s_branch .LBB6_236
.LBB6_235:                              ;   in Loop: Header=BB6_236 Depth=2
	s_or_b32 exec_lo, exec_lo, s26
	s_delay_alu instid0(SALU_CYCLE_1) | instskip(NEXT) | instid1(SALU_CYCLE_1)
	s_and_b32 s25, exec_lo, s27
	s_or_b32 s21, s25, s21
	s_and_not1_b32 s22, s22, exec_lo
	s_and_b32 s25, s23, exec_lo
	s_delay_alu instid0(SALU_CYCLE_1)
	s_or_b32 s22, s22, s25
	s_and_not1_b32 exec_lo, exec_lo, s21
	s_cbranch_execz .LBB6_254
.LBB6_236:                              ;   Parent Loop BB6_70 Depth=1
                                        ; =>  This Inner Loop Header: Depth=2
	s_add_co_i32 s24, s24, 1
	s_delay_alu instid0(SALU_CYCLE_1) | instskip(SKIP_1) | instid1(SALU_CYCLE_1)
	s_cmp_lg_u32 s24, 0x2710
	s_cselect_b32 s25, -1, 0
	s_and_b32 vcc_lo, exec_lo, s25
	s_cbranch_vccz .LBB6_238
; %bb.237:                              ;   in Loop: Header=BB6_236 Depth=2
	s_mov_b32 s27, -1
	s_or_b32 s23, s23, exec_lo
	s_and_saveexec_b32 s26, s25
	s_cbranch_execz .LBB6_235
	s_branch .LBB6_239
.LBB6_238:                              ;   in Loop: Header=BB6_236 Depth=2
	s_trap 2
	ds_load_b64 v[10:11], v0
	s_and_not1_b32 s25, s25, exec_lo
	s_mov_b32 s24, 0
	s_wait_loadcnt_dscnt 0x0
	flat_load_b32 v10, v[10:11] scope:SCOPE_SYS
	s_wait_loadcnt_dscnt 0x0
	global_inv scope:SCOPE_SYS
	v_cmp_eq_u32_e32 vcc_lo, 0, v10
	s_and_b32 s26, vcc_lo, exec_lo
	s_delay_alu instid0(SALU_CYCLE_1)
	s_or_b32 s25, s25, s26
	s_mov_b32 s27, -1
	s_or_b32 s23, s23, exec_lo
	s_and_saveexec_b32 s26, s25
	s_cbranch_execz .LBB6_235
.LBB6_239:                              ;   in Loop: Header=BB6_236 Depth=2
	s_sleep 1
	s_trap 2
	ds_load_b64 v[10:11], v0
	s_wait_dscnt 0x0
	s_and_not1_b32 s23, s23, exec_lo
	v_cmp_ge_u64_e32 vcc_lo, v[10:11], v[36:37]
	s_or_not1_b32 s27, vcc_lo, exec_lo
	s_branch .LBB6_235
.LBB6_240:                              ;   in Loop: Header=BB6_70 Depth=1
	s_or_b32 exec_lo, exec_lo, s21
	s_and_saveexec_b32 s21, s22
	s_delay_alu instid0(SALU_CYCLE_1)
	s_xor_b32 s21, exec_lo, s21
	s_cbranch_execz .LBB6_242
; %bb.241:                              ;   in Loop: Header=BB6_70 Depth=1
	ds_store_b32 v0, v115
	s_trap 2
.LBB6_242:                              ;   in Loop: Header=BB6_70 Depth=1
	s_or_b32 exec_lo, exec_lo, s20
	;;#ASMSTART
	s_wakeup
	;;#ASMEND
.LBB6_243:                              ;   in Loop: Header=BB6_70 Depth=1
	s_or_b32 exec_lo, exec_lo, s19
.LBB6_244:                              ;   in Loop: Header=BB6_70 Depth=1
	s_and_not1_saveexec_b32 s18, s18
	s_cbranch_execz .LBB6_246
; %bb.245:                              ;   in Loop: Header=BB6_70 Depth=1
	global_wb scope:SCOPE_DEV
	s_wait_storecnt 0x0
	s_wait_loadcnt_dscnt 0x0
	global_inv scope:SCOPE_DEV
	s_barrier_signal -1
	s_barrier_wait -1
.LBB6_246:                              ;   in Loop: Header=BB6_70 Depth=1
	s_or_b32 exec_lo, exec_lo, s18
	s_delay_alu instid0(SALU_CYCLE_1)
	s_or_b32 exec_lo, exec_lo, s9
	s_and_saveexec_b32 s9, s8
	s_cbranch_execnz .LBB6_110
	s_branch .LBB6_111
.LBB6_247:                              ;   in Loop: Header=BB6_70 Depth=1
	s_or_b32 exec_lo, exec_lo, s21
	s_and_saveexec_b32 s21, s22
	s_delay_alu instid0(SALU_CYCLE_1)
	s_xor_b32 s21, exec_lo, s21
	s_cbranch_execz .LBB6_249
; %bb.248:                              ;   in Loop: Header=BB6_70 Depth=1
	ds_store_b32 v0, v115
	s_trap 2
.LBB6_249:                              ;   in Loop: Header=BB6_70 Depth=1
	s_or_b32 exec_lo, exec_lo, s20
	;;#ASMSTART
	s_wakeup
	;;#ASMEND
.LBB6_250:                              ;   in Loop: Header=BB6_70 Depth=1
	s_or_b32 exec_lo, exec_lo, s19
.LBB6_251:                              ;   in Loop: Header=BB6_70 Depth=1
	s_and_not1_saveexec_b32 s18, s18
	s_cbranch_execz .LBB6_253
; %bb.252:                              ;   in Loop: Header=BB6_70 Depth=1
	global_wb scope:SCOPE_DEV
	s_wait_storecnt 0x0
	s_wait_loadcnt_dscnt 0x0
	global_inv scope:SCOPE_DEV
	s_barrier_signal -1
	s_barrier_wait -1
.LBB6_253:                              ;   in Loop: Header=BB6_70 Depth=1
	s_or_b32 exec_lo, exec_lo, s18
	s_delay_alu instid0(SALU_CYCLE_1)
	s_or_b32 exec_lo, exec_lo, s9
	s_and_saveexec_b32 s9, s8
	s_cbranch_execnz .LBB6_119
	s_branch .LBB6_120
.LBB6_254:                              ;   in Loop: Header=BB6_70 Depth=1
	s_or_b32 exec_lo, exec_lo, s21
	s_and_saveexec_b32 s21, s22
	s_delay_alu instid0(SALU_CYCLE_1)
	s_xor_b32 s21, exec_lo, s21
	s_cbranch_execz .LBB6_256
; %bb.255:                              ;   in Loop: Header=BB6_70 Depth=1
	ds_store_b32 v0, v115
	s_trap 2
.LBB6_256:                              ;   in Loop: Header=BB6_70 Depth=1
	s_or_b32 exec_lo, exec_lo, s20
	;;#ASMSTART
	s_wakeup
	;;#ASMEND
.LBB6_257:                              ;   in Loop: Header=BB6_70 Depth=1
	s_or_b32 exec_lo, exec_lo, s19
.LBB6_258:                              ;   in Loop: Header=BB6_70 Depth=1
	s_and_not1_saveexec_b32 s18, s18
	s_cbranch_execz .LBB6_260
; %bb.259:                              ;   in Loop: Header=BB6_70 Depth=1
	global_wb scope:SCOPE_DEV
	s_wait_storecnt 0x0
	s_wait_loadcnt_dscnt 0x0
	global_inv scope:SCOPE_DEV
	s_barrier_signal -1
	s_barrier_wait -1
.LBB6_260:                              ;   in Loop: Header=BB6_70 Depth=1
	s_or_b32 exec_lo, exec_lo, s18
.LBB6_261:                              ;   in Loop: Header=BB6_70 Depth=1
	s_delay_alu instid0(SALU_CYCLE_1) | instskip(SKIP_2) | instid1(VALU_DEP_1)
	s_or_b32 exec_lo, exec_lo, s9
	v_dual_mov_b32 v96, v0 :: v_dual_sub_nc_u32 v97, v1, v54
	s_mov_b32 s18, exec_lo
	v_cmpx_lt_i32_e32 0, v97
	s_cbranch_execz .LBB6_287
; %bb.262:                              ;   in Loop: Header=BB6_70 Depth=1
	v_and_b32_e32 v10, 7, v26
	v_mov_b64_e32 v[98:99], 0
	v_dual_mov_b32 v112, v3 :: v_dual_add_nc_u32 v11, 1, v26
	s_mov_b32 s19, 0
	s_delay_alu instid0(VALU_DEP_3) | instskip(SKIP_1) | instid1(VALU_DEP_1)
	v_mul_lo_u32 v12, v10, s14
	v_not_b32_e32 v10, v54
	v_dual_mov_b32 v96, v0 :: v_dual_add_nc_u32 v1, v10, v1
	s_delay_alu instid0(VALU_DEP_3) | instskip(NEXT) | instid1(VALU_DEP_1)
	v_ashrrev_i32_e32 v13, 31, v12
	v_lshl_add_u64 v[100:101], v[12:13], 4, v[86:87]
	s_branch .LBB6_264
.LBB6_263:                              ;   in Loop: Header=BB6_264 Depth=2
	v_dual_sub_nc_u32 v97, v97, v68 :: v_dual_add_nc_u32 v96, v96, v2
	v_add_nc_u64_e32 v[98:99], v[98:99], v[68:69]
	s_wait_xcnt 0x0
	v_add_nc_u64_e32 v[100:101], v[100:101], v[82:83]
	v_add_nc_u32_e32 v112, v112, v114
	v_cmp_gt_i32_e32 vcc_lo, 1, v97
	s_or_b32 s19, vcc_lo, s19
	s_delay_alu instid0(SALU_CYCLE_1)
	s_and_not1_b32 exec_lo, exec_lo, s19
	s_cbranch_execz .LBB6_286
.LBB6_264:                              ;   Parent Loop BB6_70 Depth=1
                                        ; =>  This Inner Loop Header: Depth=2
	v_add_nc_u64_e32 v[102:103], v[80:81], v[98:99]
	v_min_u32_e32 v48, 8, v97
	s_mov_b32 s9, exec_lo
	v_dual_mov_b32 v113, 0 :: v_dual_mov_b32 v117, 0
	s_delay_alu instid0(VALU_DEP_3) | instskip(SKIP_4) | instid1(VALU_DEP_1)
	v_dual_mov_b32 v13, v103 :: v_dual_bitop2_b32 v12, -4, v102 bitop3:0x40
	v_and_b32_e32 v102, 3, v102
	global_load_b32 v10, v[12:13], off th:TH_LOAD_NT
	v_add_nc_u32_e32 v48, v102, v48
	s_wait_xcnt 0x0
	v_cmpx_lt_u32_e32 4, v48
	s_cbranch_execz .LBB6_266
; %bb.265:                              ;   in Loop: Header=BB6_264 Depth=2
	global_load_b32 v117, v[12:13], off offset:4 th:TH_LOAD_NT
.LBB6_266:                              ;   in Loop: Header=BB6_264 Depth=2
	s_wait_xcnt 0x0
	s_or_b32 exec_lo, exec_lo, s9
	s_delay_alu instid0(SALU_CYCLE_1)
	s_mov_b32 s9, exec_lo
	v_cmpx_lt_u64_e32 8, v[48:49]
	s_cbranch_execz .LBB6_268
; %bb.267:                              ;   in Loop: Header=BB6_264 Depth=2
	global_load_b32 v113, v[12:13], off offset:8 th:TH_LOAD_NT
.LBB6_268:                              ;   in Loop: Header=BB6_264 Depth=2
	s_wait_xcnt 0x0
	s_or_b32 exec_lo, exec_lo, s9
	v_add_nc_u64_e32 v[102:103], v[84:85], v[98:99]
	v_cmp_lt_u32_e32 vcc_lo, 7, v97
	s_wait_loadcnt 0x0
	v_alignbit_b32 v10, v117, v10, v112
	v_alignbit_b32 v12, v113, v117, v112
	v_mov_b32_e32 v13, v11
	s_mov_b32 s9, -1
	s_cmp_lg_u32 vcc_lo, exec_lo
	global_store_b128 v[100:101], v[10:13], off
	s_cbranch_scc0 .LBB6_284
; %bb.269:                              ;   in Loop: Header=BB6_264 Depth=2
	s_mov_b32 s20, exec_lo
	flat_store_b8 v[102:103], v10
	s_wait_xcnt 0x0
	v_cmpx_ne_u32_e64 v1, v98
	s_cbranch_execz .LBB6_271
; %bb.270:                              ;   in Loop: Header=BB6_264 Depth=2
	v_lshrrev_b32_e32 v13, 8, v10
	flat_store_b8 v[102:103], v13 offset:1
.LBB6_271:                              ;   in Loop: Header=BB6_264 Depth=2
	s_wait_xcnt 0x0
	s_or_b32 exec_lo, exec_lo, s20
	s_delay_alu instid0(SALU_CYCLE_1)
	s_mov_b32 s20, exec_lo
	v_cmpx_lt_u32_e32 2, v97
	s_cbranch_execz .LBB6_273
; %bb.272:                              ;   in Loop: Header=BB6_264 Depth=2
	flat_store_d16_hi_b8 v[102:103], v10 offset:2
.LBB6_273:                              ;   in Loop: Header=BB6_264 Depth=2
	s_wait_xcnt 0x0
	s_or_b32 exec_lo, exec_lo, s20
	s_delay_alu instid0(SALU_CYCLE_1)
	s_mov_b32 s20, exec_lo
	v_cmpx_lt_u32_e32 3, v97
	s_cbranch_execz .LBB6_275
; %bb.274:                              ;   in Loop: Header=BB6_264 Depth=2
	v_lshrrev_b32_e32 v13, 24, v10
	flat_store_b8 v[102:103], v13 offset:3
.LBB6_275:                              ;   in Loop: Header=BB6_264 Depth=2
	s_wait_xcnt 0x0
	s_or_b32 exec_lo, exec_lo, s20
	s_delay_alu instid0(SALU_CYCLE_1)
	s_mov_b32 s20, exec_lo
	v_cmpx_lt_u32_e32 4, v97
	s_cbranch_execz .LBB6_277
; %bb.276:                              ;   in Loop: Header=BB6_264 Depth=2
	flat_store_b8 v[102:103], v12 offset:4
.LBB6_277:                              ;   in Loop: Header=BB6_264 Depth=2
	s_wait_xcnt 0x0
	s_or_b32 exec_lo, exec_lo, s20
	s_delay_alu instid0(SALU_CYCLE_1)
	s_mov_b32 s20, exec_lo
	v_cmpx_lt_u32_e32 5, v97
	s_cbranch_execz .LBB6_279
; %bb.278:                              ;   in Loop: Header=BB6_264 Depth=2
	v_lshrrev_b32_e32 v13, 8, v12
	flat_store_b8 v[102:103], v13 offset:5
.LBB6_279:                              ;   in Loop: Header=BB6_264 Depth=2
	s_wait_xcnt 0x0
	s_or_b32 exec_lo, exec_lo, s20
	s_delay_alu instid0(SALU_CYCLE_1)
	s_mov_b32 s20, exec_lo
	v_cmpx_lt_u32_e32 6, v97
	s_cbranch_execz .LBB6_281
; %bb.280:                              ;   in Loop: Header=BB6_264 Depth=2
	flat_store_d16_hi_b8 v[102:103], v12 offset:6
.LBB6_281:                              ;   in Loop: Header=BB6_264 Depth=2
	s_wait_xcnt 0x0
	s_or_b32 exec_lo, exec_lo, s20
	s_and_saveexec_b32 s9, vcc_lo
	s_cbranch_execz .LBB6_283
; %bb.282:                              ;   in Loop: Header=BB6_264 Depth=2
	v_lshrrev_b32_e32 v13, 24, v12
	flat_store_b8 v[102:103], v13 offset:7
.LBB6_283:                              ;   in Loop: Header=BB6_264 Depth=2
	s_wait_xcnt 0x0
	s_or_b32 exec_lo, exec_lo, s9
	s_mov_b32 s9, 0
.LBB6_284:                              ;   in Loop: Header=BB6_264 Depth=2
	s_delay_alu instid0(SALU_CYCLE_1)
	s_and_b32 vcc_lo, exec_lo, s9
	s_cbranch_vccz .LBB6_263
; %bb.285:                              ;   in Loop: Header=BB6_264 Depth=2
	v_dual_mov_b32 v118, v10 :: v_dual_mov_b32 v119, v12
	global_store_b64 v[102:103], v[118:119], off
	s_branch .LBB6_263
.LBB6_286:                              ;   in Loop: Header=BB6_70 Depth=1
	s_or_b32 exec_lo, exec_lo, s19
.LBB6_287:                              ;   in Loop: Header=BB6_70 Depth=1
	s_delay_alu instid0(SALU_CYCLE_1) | instskip(SKIP_2) | instid1(VALU_DEP_2)
	s_or_b32 exec_lo, exec_lo, s18
	v_and_b32_e32 v48, 0x7ffffff8, v26
	v_cmp_gt_i32_e64 s9, s14, v96
	v_cmp_eq_u64_e32 vcc_lo, 0x7ffffff8, v[48:49]
	s_and_b32 s18, vcc_lo, s9
	s_delay_alu instid0(SALU_CYCLE_1)
	s_and_saveexec_b32 s9, s18
	s_cbranch_execz .LBB6_290
; %bb.288:                              ;   in Loop: Header=BB6_70 Depth=1
	v_dual_ashrrev_i32 v97, 31, v96 :: v_dual_bitop2_b32 v1, 7, v26 bitop3:0x40
	s_mov_b32 s18, 0
	s_delay_alu instid0(VALU_DEP_1) | instskip(NEXT) | instid1(VALU_DEP_1)
	v_mul_lo_u32 v10, v1, s14
	v_ashrrev_i32_e32 v11, 31, v10
	s_delay_alu instid0(VALU_DEP_1) | instskip(NEXT) | instid1(VALU_DEP_1)
	v_lshlrev_b64_e32 v[10:11], 4, v[10:11]
	v_lshl_add_u64 v[10:11], v[96:97], 4, v[10:11]
	s_delay_alu instid0(VALU_DEP_1)
	v_add_nc_u64_e32 v[98:99], v[24:25], v[10:11]
	v_dual_mov_b32 v10, v49 :: v_dual_add_nc_u32 v11, 1, v26
.LBB6_289:                              ;   Parent Loop BB6_70 Depth=1
                                        ; =>  This Inner Loop Header: Depth=2
	s_delay_alu instid0(VALU_DEP_1) | instskip(NEXT) | instid1(VALU_DEP_2)
	v_dual_mov_b32 v12, v10 :: v_dual_add_nc_u32 v96, v96, v2
	v_mov_b32_e32 v13, v11
	s_delay_alu instid0(VALU_DEP_2) | instskip(SKIP_4) | instid1(SALU_CYCLE_1)
	v_cmp_le_i32_e32 vcc_lo, s14, v96
	global_store_b128 v[98:99], v[10:13], off
	s_wait_xcnt 0x0
	v_add_nc_u64_e32 v[98:99], v[98:99], v[82:83]
	s_or_b32 s18, vcc_lo, s18
	s_and_not1_b32 exec_lo, exec_lo, s18
	s_cbranch_execnz .LBB6_289
.LBB6_290:                              ;   in Loop: Header=BB6_70 Depth=1
	s_or_b32 exec_lo, exec_lo, s9
	v_add_nc_u64_e32 v[26:27], 1, v[26:27]
                                        ; implicit-def: $vgpr1
                                        ; implicit-def: $vgpr12
.LBB6_291:                              ;   in Loop: Header=BB6_70 Depth=1
	s_and_not1_saveexec_b32 s17, s17
	s_cbranch_execz .LBB6_68
; %bb.292:                              ;   in Loop: Header=BB6_70 Depth=1
	s_and_saveexec_b32 s18, s3
	s_cbranch_execz .LBB6_308
; %bb.293:                              ;   in Loop: Header=BB6_70 Depth=1
	v_add_nc_u64_e32 v[10:11], 1, v[8:9]
	s_wait_loadcnt_dscnt 0x0
	v_add_nc_u64_e32 v[96:97], 8, v[52:53]
	s_mov_b32 s19, exec_lo
	s_delay_alu instid0(VALU_DEP_1)
	v_cmpx_lt_u64_e64 v[96:97], v[10:11]
	s_cbranch_execz .LBB6_305
; %bb.294:                              ;   in Loop: Header=BB6_70 Depth=1
	s_mov_b32 s20, 0
	s_mov_b32 s24, 0
	v_cmp_eq_u32_e32 vcc_lo, 0, v116
                                        ; implicit-def: $sgpr21
                                        ; implicit-def: $sgpr22
                                        ; implicit-def: $sgpr23
	s_branch .LBB6_297
.LBB6_295:                              ;   in Loop: Header=BB6_297 Depth=2
	s_or_b32 exec_lo, exec_lo, s29
	s_delay_alu instid0(SALU_CYCLE_1)
	s_and_not1_b32 s9, s23, exec_lo
	s_and_b32 s23, s27, exec_lo
	s_and_not1_b32 s22, s22, exec_lo
	s_and_b32 s26, s26, exec_lo
	s_or_b32 s23, s9, s23
	s_or_b32 s22, s22, s26
.LBB6_296:                              ;   in Loop: Header=BB6_297 Depth=2
	s_or_b32 exec_lo, exec_lo, s25
	s_delay_alu instid0(SALU_CYCLE_1) | instskip(NEXT) | instid1(SALU_CYCLE_1)
	s_and_b32 s9, exec_lo, s22
	s_or_b32 s20, s9, s20
	s_and_not1_b32 s9, s21, exec_lo
	s_and_b32 s21, s23, exec_lo
	s_delay_alu instid0(SALU_CYCLE_1)
	s_or_b32 s21, s9, s21
	s_and_not1_b32 exec_lo, exec_lo, s20
	s_cbranch_execz .LBB6_302
.LBB6_297:                              ;   Parent Loop BB6_70 Depth=1
                                        ; =>  This Inner Loop Header: Depth=2
	s_sleep 1
	s_wait_loadcnt_dscnt 0x0
	flat_load_b64 v[52:53], v[34:35] scope:SCOPE_DEV
	v_mov_b32_e32 v116, 1
	s_or_b32 s23, s23, exec_lo
	s_or_b32 s22, s22, exec_lo
                                        ; implicit-def: $vgpr9
	s_wait_xcnt 0x0
	s_and_saveexec_b32 s25, vcc_lo
	s_cbranch_execz .LBB6_296
; %bb.298:                              ;   in Loop: Header=BB6_297 Depth=2
	s_add_co_i32 s24, s24, 1
	s_mov_b32 s26, -1
	s_cmp_lg_u32 s24, 0x2710
	s_mov_b32 s27, -1
	s_cselect_b32 s28, -1, 0
	s_cmp_eq_u32 s24, 0x2710
                                        ; implicit-def: $vgpr9
	s_cbranch_scc1 .LBB6_300
; %bb.299:                              ;   in Loop: Header=BB6_297 Depth=2
	v_mov_b32_e32 v116, 1
	s_and_saveexec_b32 s29, s28
	s_cbranch_execz .LBB6_295
	s_branch .LBB6_301
.LBB6_300:                              ;   in Loop: Header=BB6_297 Depth=2
	s_trap 2
	ds_load_b64 v[96:97], v0
	s_and_not1_b32 s24, s28, exec_lo
	s_mov_b32 s27, 0
	s_wait_storecnt 0x0
	s_wait_loadcnt_dscnt 0x0
	flat_load_b32 v9, v[96:97] scope:SCOPE_SYS
	s_wait_loadcnt_dscnt 0x0
	global_inv scope:SCOPE_SYS
	v_cmp_eq_u32_e64 s9, 0, v9
	s_and_b32 s9, s9, exec_lo
	s_delay_alu instid0(SALU_CYCLE_1)
	s_or_b32 s28, s24, s9
	s_mov_b32 s24, 0
	v_mov_b32_e32 v116, 1
	s_and_saveexec_b32 s29, s28
	s_cbranch_execz .LBB6_295
.LBB6_301:                              ;   in Loop: Header=BB6_297 Depth=2
	s_wait_loadcnt_dscnt 0x0
	v_add_nc_u64_e32 v[96:97], 8, v[52:53]
	v_mov_b32_e32 v116, 0
	s_or_b32 s27, s27, exec_lo
	s_delay_alu instid0(VALU_DEP_2)
	v_cmp_ge_u64_e64 s9, v[96:97], v[10:11]
	s_or_not1_b32 s26, s9, exec_lo
	s_branch .LBB6_295
.LBB6_302:                              ;   in Loop: Header=BB6_70 Depth=1
	s_or_b32 exec_lo, exec_lo, s20
	s_xor_b32 s9, s21, -1
	s_delay_alu instid0(SALU_CYCLE_1) | instskip(NEXT) | instid1(SALU_CYCLE_1)
	s_and_saveexec_b32 s20, s9
	s_xor_b32 s9, exec_lo, s20
	s_cbranch_execz .LBB6_304
; %bb.303:                              ;   in Loop: Header=BB6_70 Depth=1
	v_mov_b32_e32 v116, 1
	s_wait_storecnt 0x0
	s_wait_loadcnt_dscnt 0x0
	ds_store_b32 v0, v9
	s_trap 2
.LBB6_304:                              ;   in Loop: Header=BB6_70 Depth=1
	s_or_b32 exec_lo, exec_lo, s9
.LBB6_305:                              ;   in Loop: Header=BB6_70 Depth=1
	s_delay_alu instid0(SALU_CYCLE_1)
	s_or_b32 exec_lo, exec_lo, s19
	s_and_saveexec_b32 s9, s4
	s_cbranch_execz .LBB6_307
; %bb.306:                              ;   in Loop: Header=BB6_70 Depth=1
	v_and_b32_e32 v48, 0x7ffffff8, v8
	v_and_b32_e32 v8, 7, v8
	s_delay_alu instid0(VALU_DEP_2) | instskip(NEXT) | instid1(VALU_DEP_2)
	v_cmp_eq_u64_e32 vcc_lo, 0x7ffffff8, v[48:49]
	v_mad_nc_u64_u32 v[8:9], v8, 24, v[6:7]
	v_cndmask_b32_e64 v12, v12, s14, vcc_lo
	s_delay_alu instid0(VALU_DEP_1) | instskip(NEXT) | instid1(VALU_DEP_1)
	v_lshlrev_b32_e32 v12, 4, v12
	v_ashrrev_i32_e32 v13, 31, v12
	flat_store_b64 v[8:9], v[12:13] offset:8 scope:SCOPE_SYS
	s_wait_storecnt 0x0
.LBB6_307:                              ;   in Loop: Header=BB6_70 Depth=1
	s_wait_xcnt 0x0
	s_or_b32 exec_lo, exec_lo, s9
	v_mov_b64_e32 v[8:9], v[10:11]
.LBB6_308:                              ;   in Loop: Header=BB6_70 Depth=1
	s_or_b32 exec_lo, exec_lo, s18
	s_and_saveexec_b32 s9, s5
	s_cbranch_execz .LBB6_327
; %bb.309:                              ;   in Loop: Header=BB6_70 Depth=1
	s_and_saveexec_b32 s18, s6
	s_delay_alu instid0(SALU_CYCLE_1)
	s_xor_b32 s18, exec_lo, s18
	s_cbranch_execz .LBB6_324
; %bb.310:                              ;   in Loop: Header=BB6_70 Depth=1
	s_and_saveexec_b32 s19, s7
	s_cbranch_execz .LBB6_323
; %bb.311:                              ;   in Loop: Header=BB6_70 Depth=1
	s_mov_b32 s21, exec_lo
	s_mov_b32 s20, exec_lo
	v_mbcnt_lo_u32_b32 v10, s21, 0
	global_wb scope:SCOPE_DEV
	s_wait_storecnt 0x0
	s_wait_loadcnt_dscnt 0x0
	global_inv scope:SCOPE_DEV
	v_cmpx_eq_u32_e32 0, v10
	s_cbranch_execz .LBB6_313
; %bb.312:                              ;   in Loop: Header=BB6_70 Depth=1
	s_bcnt1_i32_b32 s21, s21
	s_delay_alu instid0(SALU_CYCLE_1)
	v_mov_b32_e32 v48, s21
	s_wait_loadcnt 0x0
	ds_add_u64 v0, v[48:49]
	s_trap 2
.LBB6_313:                              ;   in Loop: Header=BB6_70 Depth=1
	s_or_b32 exec_lo, exec_lo, s20
	s_trap 2
	ds_load_b64 v[10:11], v0
	s_wait_dscnt 0x0
	v_add_nc_u64_e32 v[36:37], v[36:37], v[66:67]
	s_mov_b32 s20, exec_lo
	s_delay_alu instid0(VALU_DEP_1)
	v_cmpx_lt_u64_e64 v[10:11], v[36:37]
	s_cbranch_execz .LBB6_322
; %bb.314:                              ;   in Loop: Header=BB6_70 Depth=1
	s_mov_b32 s21, 0
	s_mov_b32 s24, 0
                                        ; implicit-def: $sgpr22
                                        ; implicit-def: $sgpr23
	s_branch .LBB6_316
.LBB6_315:                              ;   in Loop: Header=BB6_316 Depth=2
	s_or_b32 exec_lo, exec_lo, s26
	s_delay_alu instid0(SALU_CYCLE_1) | instskip(NEXT) | instid1(SALU_CYCLE_1)
	s_and_b32 s25, exec_lo, s27
	s_or_b32 s21, s25, s21
	s_and_not1_b32 s22, s22, exec_lo
	s_and_b32 s25, s23, exec_lo
	s_delay_alu instid0(SALU_CYCLE_1)
	s_or_b32 s22, s22, s25
	s_and_not1_b32 exec_lo, exec_lo, s21
	s_cbranch_execz .LBB6_320
.LBB6_316:                              ;   Parent Loop BB6_70 Depth=1
                                        ; =>  This Inner Loop Header: Depth=2
	s_add_co_i32 s24, s24, 1
	s_delay_alu instid0(SALU_CYCLE_1) | instskip(SKIP_1) | instid1(SALU_CYCLE_1)
	s_cmp_lg_u32 s24, 0x2710
	s_cselect_b32 s25, -1, 0
	s_and_b32 vcc_lo, exec_lo, s25
	s_cbranch_vccz .LBB6_318
; %bb.317:                              ;   in Loop: Header=BB6_316 Depth=2
	s_mov_b32 s27, -1
	s_or_b32 s23, s23, exec_lo
	s_and_saveexec_b32 s26, s25
	s_cbranch_execz .LBB6_315
	s_branch .LBB6_319
.LBB6_318:                              ;   in Loop: Header=BB6_316 Depth=2
	s_trap 2
	ds_load_b64 v[10:11], v0
	s_and_not1_b32 s25, s25, exec_lo
	s_mov_b32 s24, 0
	s_wait_loadcnt_dscnt 0x0
	flat_load_b32 v10, v[10:11] scope:SCOPE_SYS
	s_wait_loadcnt_dscnt 0x0
	global_inv scope:SCOPE_SYS
	v_cmp_eq_u32_e32 vcc_lo, 0, v10
	s_and_b32 s26, vcc_lo, exec_lo
	s_delay_alu instid0(SALU_CYCLE_1)
	s_or_b32 s25, s25, s26
	s_mov_b32 s27, -1
	s_or_b32 s23, s23, exec_lo
	s_and_saveexec_b32 s26, s25
	s_cbranch_execz .LBB6_315
.LBB6_319:                              ;   in Loop: Header=BB6_316 Depth=2
	s_sleep 1
	s_trap 2
	ds_load_b64 v[10:11], v0
	s_wait_dscnt 0x0
	s_and_not1_b32 s23, s23, exec_lo
	v_cmp_ge_u64_e32 vcc_lo, v[10:11], v[36:37]
	s_or_not1_b32 s27, vcc_lo, exec_lo
	s_branch .LBB6_315
.LBB6_320:                              ;   in Loop: Header=BB6_70 Depth=1
	s_or_b32 exec_lo, exec_lo, s21
	s_and_saveexec_b32 s21, s22
	s_delay_alu instid0(SALU_CYCLE_1)
	s_xor_b32 s21, exec_lo, s21
	s_cbranch_execz .LBB6_322
; %bb.321:                              ;   in Loop: Header=BB6_70 Depth=1
	ds_store_b32 v0, v115
	s_trap 2
.LBB6_322:                              ;   in Loop: Header=BB6_70 Depth=1
	s_or_b32 exec_lo, exec_lo, s20
	;;#ASMSTART
	s_wakeup
	;;#ASMEND
.LBB6_323:                              ;   in Loop: Header=BB6_70 Depth=1
	s_or_b32 exec_lo, exec_lo, s19
.LBB6_324:                              ;   in Loop: Header=BB6_70 Depth=1
	s_and_not1_saveexec_b32 s18, s18
	s_cbranch_execz .LBB6_326
; %bb.325:                              ;   in Loop: Header=BB6_70 Depth=1
	global_wb scope:SCOPE_DEV
	s_wait_storecnt 0x0
	s_wait_loadcnt_dscnt 0x0
	global_inv scope:SCOPE_DEV
	s_barrier_signal -1
	s_barrier_wait -1
.LBB6_326:                              ;   in Loop: Header=BB6_70 Depth=1
	s_or_b32 exec_lo, exec_lo, s18
.LBB6_327:                              ;   in Loop: Header=BB6_70 Depth=1
	s_delay_alu instid0(SALU_CYCLE_1) | instskip(SKIP_3) | instid1(VALU_DEP_2)
	s_or_b32 exec_lo, exec_lo, s9
	v_dual_mov_b32 v96, v0 :: v_dual_sub_nc_u32 v97, v1, v54
	v_dual_add_nc_u32 v11, 1, v26 :: v_dual_bitop2_b32 v1, 7, v26 bitop3:0x40
	s_mov_b32 s9, exec_lo
	v_cmpx_lt_i32_e32 0, v97
	s_cbranch_execz .LBB6_335
; %bb.328:                              ;   in Loop: Header=BB6_70 Depth=1
	s_delay_alu instid0(VALU_DEP_2) | instskip(SKIP_3) | instid1(VALU_DEP_3)
	v_mul_lo_u32 v12, v1, s14
	v_mov_b64_e32 v[98:99], v[80:81]
	v_mov_b32_e32 v96, v0
	s_mov_b32 s18, 0
	v_dual_mov_b32 v102, v3 :: v_dual_ashrrev_i32 v13, 31, v12
	s_delay_alu instid0(VALU_DEP_1)
	v_lshl_add_u64 v[100:101], v[12:13], 4, v[86:87]
	s_branch .LBB6_330
.LBB6_329:                              ;   in Loop: Header=BB6_330 Depth=2
	s_wait_xcnt 0x0
	s_or_b32 exec_lo, exec_lo, s19
	s_wait_loadcnt 0x0
	v_alignbit_b32 v10, v112, v10, v102
	v_alignbit_b32 v12, v103, v112, v102
	v_dual_mov_b32 v13, v11 :: v_dual_sub_nc_u32 v97, v97, v68
	v_add_nc_u64_e32 v[98:99], v[98:99], v[68:69]
	v_add_nc_u32_e32 v96, v96, v2
	v_add_nc_u32_e32 v102, v102, v114
	global_store_b128 v[100:101], v[10:13], off
	v_cmp_gt_i32_e32 vcc_lo, 1, v97
	s_wait_xcnt 0x0
	v_add_nc_u64_e32 v[100:101], v[100:101], v[82:83]
	s_or_b32 s18, vcc_lo, s18
	s_delay_alu instid0(SALU_CYCLE_1)
	s_and_not1_b32 exec_lo, exec_lo, s18
	s_cbranch_execz .LBB6_334
.LBB6_330:                              ;   Parent Loop BB6_70 Depth=1
                                        ; =>  This Inner Loop Header: Depth=2
	s_delay_alu instid0(VALU_DEP_4)
	v_dual_mov_b32 v13, v99 :: v_dual_bitop2_b32 v12, -4, v98 bitop3:0x40
	v_min_u32_e32 v48, 8, v97
	v_dual_mov_b32 v112, 0 :: v_dual_bitop2_b32 v103, 3, v98 bitop3:0x40
	s_mov_b32 s19, exec_lo
	global_load_b32 v10, v[12:13], off th:TH_LOAD_NT
	v_dual_mov_b32 v103, 0 :: v_dual_add_nc_u32 v48, v103, v48
	s_wait_xcnt 0x0
	s_delay_alu instid0(VALU_DEP_1)
	v_cmpx_lt_u32_e32 4, v48
	s_cbranch_execz .LBB6_332
; %bb.331:                              ;   in Loop: Header=BB6_330 Depth=2
	global_load_b32 v112, v[12:13], off offset:4 th:TH_LOAD_NT
.LBB6_332:                              ;   in Loop: Header=BB6_330 Depth=2
	s_wait_xcnt 0x0
	s_or_b32 exec_lo, exec_lo, s19
	s_delay_alu instid0(SALU_CYCLE_1)
	s_mov_b32 s19, exec_lo
	v_cmpx_lt_u64_e32 8, v[48:49]
	s_cbranch_execz .LBB6_329
; %bb.333:                              ;   in Loop: Header=BB6_330 Depth=2
	global_load_b32 v103, v[12:13], off offset:8 th:TH_LOAD_NT
	s_branch .LBB6_329
.LBB6_334:                              ;   in Loop: Header=BB6_70 Depth=1
	s_or_b32 exec_lo, exec_lo, s18
.LBB6_335:                              ;   in Loop: Header=BB6_70 Depth=1
	s_delay_alu instid0(SALU_CYCLE_1) | instskip(SKIP_2) | instid1(VALU_DEP_2)
	s_or_b32 exec_lo, exec_lo, s9
	v_and_b32_e32 v48, 0x7ffffff8, v26
	v_cmp_gt_i32_e64 s9, s14, v96
	v_cmp_eq_u64_e32 vcc_lo, 0x7ffffff8, v[48:49]
	s_and_b32 s18, vcc_lo, s9
	s_delay_alu instid0(SALU_CYCLE_1)
	s_and_saveexec_b32 s9, s18
	s_cbranch_execz .LBB6_67
; %bb.336:                              ;   in Loop: Header=BB6_70 Depth=1
	v_mul_lo_u32 v12, v1, s14
	v_ashrrev_i32_e32 v97, 31, v96
	s_mov_b32 s18, 0
	s_delay_alu instid0(VALU_DEP_2) | instskip(NEXT) | instid1(VALU_DEP_1)
	v_dual_mov_b32 v10, v49 :: v_dual_ashrrev_i32 v13, 31, v12
	v_lshlrev_b64_e32 v[12:13], 4, v[12:13]
	s_delay_alu instid0(VALU_DEP_1) | instskip(NEXT) | instid1(VALU_DEP_1)
	v_lshl_add_u64 v[12:13], v[96:97], 4, v[12:13]
	v_add_nc_u64_e32 v[98:99], v[24:25], v[12:13]
.LBB6_337:                              ;   Parent Loop BB6_70 Depth=1
                                        ; =>  This Inner Loop Header: Depth=2
	s_delay_alu instid0(VALU_DEP_4) | instskip(SKIP_1) | instid1(VALU_DEP_2)
	v_dual_mov_b32 v12, v10 :: v_dual_add_nc_u32 v96, v96, v2
	v_mov_b32_e32 v13, v11
	v_cmp_le_i32_e32 vcc_lo, s14, v96
	global_store_b128 v[98:99], v[10:13], off
	s_wait_xcnt 0x0
	v_add_nc_u64_e32 v[98:99], v[98:99], v[82:83]
	s_or_b32 s18, vcc_lo, s18
	s_delay_alu instid0(SALU_CYCLE_1)
	s_and_not1_b32 exec_lo, exec_lo, s18
	s_cbranch_execnz .LBB6_337
	s_branch .LBB6_67
.LBB6_338:
	s_or_b32 exec_lo, exec_lo, s10
	s_delay_alu instid0(SALU_CYCLE_1)
	s_or_b32 exec_lo, exec_lo, s13
	s_and_saveexec_b32 s1, s12
	s_cbranch_execz .LBB6_52
.LBB6_339:
	s_wait_dscnt 0x0
	flat_store_b64 v[18:19], v[28:29] offset:104
	s_wait_xcnt 0x0
	s_or_b32 exec_lo, exec_lo, s1
	s_and_saveexec_b32 s1, s0
	s_cbranch_execnz .LBB6_53
	s_branch .LBB6_54
.LBB6_340:
	s_or_b32 exec_lo, exec_lo, s4
	s_and_saveexec_b32 s4, s5
	s_delay_alu instid0(SALU_CYCLE_1)
	s_xor_b32 s4, exec_lo, s4
	s_cbranch_execz .LBB6_342
; %bb.341:
	v_mov_b32_e32 v0, 1
	ds_store_b32 v0, v0
	s_trap 2
.LBB6_342:
	s_or_b32 exec_lo, exec_lo, s3
	;;#ASMSTART
	s_wakeup
	;;#ASMEND
.LBB6_343:
	s_or_b32 exec_lo, exec_lo, s2
.LBB6_344:
	s_and_not1_saveexec_b32 s1, s1
	s_cbranch_execz .LBB6_346
; %bb.345:
	global_wb scope:SCOPE_DEV
	s_wait_storecnt 0x0
	s_wait_loadcnt_dscnt 0x0
	global_inv scope:SCOPE_DEV
	s_barrier_signal -1
	s_barrier_wait -1
.LBB6_346:
	s_or_b32 exec_lo, exec_lo, s0
	s_delay_alu instid0(SALU_CYCLE_1)
	s_or_b32 exec_lo, exec_lo, s11
	s_wait_loadcnt_dscnt 0x0
	s_set_pc_i64 s[30:31]
.Lfunc_end6:
	.size	_ZN12_GLOBAL__N_17runRingIa7FuncSumIaE7ProtoLLLi0ELi2ELi0EEEviiP15ncclDevWorkColl, .Lfunc_end6-_ZN12_GLOBAL__N_17runRingIa7FuncSumIaE7ProtoLLLi0ELi2ELi0EEEviiP15ncclDevWorkColl
                                        ; -- End function
	.set .L_ZN12_GLOBAL__N_17runRingIa7FuncSumIaE7ProtoLLLi0ELi2ELi0EEEviiP15ncclDevWorkColl.num_vgpr, 120
	.set .L_ZN12_GLOBAL__N_17runRingIa7FuncSumIaE7ProtoLLLi0ELi2ELi0EEEviiP15ncclDevWorkColl.num_agpr, 0
	.set .L_ZN12_GLOBAL__N_17runRingIa7FuncSumIaE7ProtoLLLi0ELi2ELi0EEEviiP15ncclDevWorkColl.numbered_sgpr, 32
	.set .L_ZN12_GLOBAL__N_17runRingIa7FuncSumIaE7ProtoLLLi0ELi2ELi0EEEviiP15ncclDevWorkColl.num_named_barrier, 0
	.set .L_ZN12_GLOBAL__N_17runRingIa7FuncSumIaE7ProtoLLLi0ELi2ELi0EEEviiP15ncclDevWorkColl.private_seg_size, 0
	.set .L_ZN12_GLOBAL__N_17runRingIa7FuncSumIaE7ProtoLLLi0ELi2ELi0EEEviiP15ncclDevWorkColl.uses_vcc, 1
	.set .L_ZN12_GLOBAL__N_17runRingIa7FuncSumIaE7ProtoLLLi0ELi2ELi0EEEviiP15ncclDevWorkColl.uses_flat_scratch, 1
	.set .L_ZN12_GLOBAL__N_17runRingIa7FuncSumIaE7ProtoLLLi0ELi2ELi0EEEviiP15ncclDevWorkColl.has_dyn_sized_stack, 0
	.set .L_ZN12_GLOBAL__N_17runRingIa7FuncSumIaE7ProtoLLLi0ELi2ELi0EEEviiP15ncclDevWorkColl.has_recursion, 0
	.set .L_ZN12_GLOBAL__N_17runRingIa7FuncSumIaE7ProtoLLLi0ELi2ELi0EEEviiP15ncclDevWorkColl.has_indirect_call, 0
	.section	.AMDGPU.csdata,"",@progbits
; Function info:
; codeLenInByte = 11628
; TotalNumSgprs: 34
; NumVgprs: 120
; ScratchSize: 0
; MemoryBound: 1
	.text
	.p2align	2                               ; -- Begin function _Z42ncclDevFunc_Broadcast_RING_LL_Sum_i8_0_0_2v
	.type	_Z42ncclDevFunc_Broadcast_RING_LL_Sum_i8_0_0_2v,@function
_Z42ncclDevFunc_Broadcast_RING_LL_Sum_i8_0_0_2v: ; @_Z42ncclDevFunc_Broadcast_RING_LL_Sum_i8_0_0_2v
; %bb.0:
	s_wait_loadcnt_dscnt 0x0
	s_wait_kmcnt 0x0
	s_mov_b32 s47, s33
	s_mov_b32 s33, s32
	s_or_saveexec_b32 s0, -1
	scratch_store_b32 off, v42, s33 offset:8 ; 4-byte Folded Spill
	s_wait_xcnt 0x0
	s_mov_b32 exec_lo, s0
	s_add_co_i32 s32, s32, 16
	s_clause 0x1
	scratch_store_b32 off, v40, s33 offset:4
	; meta instruction
	scratch_store_b32 off, v41, s33
	v_writelane_b32 v42, s30, 0
	v_writelane_b32 v42, s31, 1
	s_trap 2
	ds_load_b32 v0, v0
	s_wait_xcnt 0x1
	v_mov_b32_e32 v40, v31
	s_wait_dscnt 0x0
	v_cmp_gt_i32_e32 vcc_lo, 1, v0
	s_cbranch_vccnz .LBB7_8
; %bb.1:
	s_wait_xcnt 0x0
	v_and_b32_e32 v41, 0x3ff, v40
	s_mov_b32 s42, s12
	s_mov_b64 s[40:41], s[8:9]
	s_mov_b32 s43, 0
	s_get_pc_i64 s[44:45]
	s_add_nc_u64 s[44:45], s[44:45], _ZN12_GLOBAL__N_17runRingIa7FuncSumIaE7ProtoLLLi0ELi2ELi0EEEviiP15ncclDevWorkColl@rel64+4
	s_branch .LBB7_3
.LBB7_2:                                ;   in Loop: Header=BB7_3 Depth=1
	s_or_b32 exec_lo, exec_lo, s46
	s_trap 2
	ds_load_b32 v0, v0
	s_add_co_i32 s43, s43, 1
	s_wait_dscnt 0x0
	v_cmp_lt_i32_e32 vcc_lo, s43, v0
	s_cbranch_vccz .LBB7_8
.LBB7_3:                                ; =>This Inner Loop Header: Depth=1
	s_trap 2
	ds_load_b32 v0, v0
	s_cmp_eq_u32 s43, 0
	s_cbranch_scc1 .LBB7_6
; %bb.4:                                ;   in Loop: Header=BB7_3 Depth=1
	s_trap 2
	s_wait_dscnt 0x0
	ds_load_b32 v1, v0
	s_wait_dscnt 0x0
	v_xor_b32_e32 v1, v1, v0
	s_delay_alu instid0(VALU_DEP_1) | instskip(NEXT) | instid1(VALU_DEP_1)
	v_and_b32_e32 v1, 0xff0000, v1
	v_cmp_eq_u32_e32 vcc_lo, 0, v1
	s_cbranch_vccnz .LBB7_6
; %bb.5:                                ;   in Loop: Header=BB7_3 Depth=1
	s_wait_storecnt 0x0
	s_barrier_signal -1
	s_barrier_wait -1
	ds_load_b32 v0, v0
.LBB7_6:                                ;   in Loop: Header=BB7_3 Depth=1
	s_wait_dscnt 0x0
	v_lshrrev_b32_e32 v0, 11, v0
	s_mov_b32 s46, exec_lo
	s_delay_alu instid0(VALU_DEP_1) | instskip(NEXT) | instid1(VALU_DEP_1)
	v_and_b32_e32 v1, 0x1fe0, v0
	v_cmpx_lt_u32_e64 v41, v1
	s_cbranch_execz .LBB7_2
; %bb.7:                                ;   in Loop: Header=BB7_3 Depth=1
	s_mov_b64 s[0:1], src_shared_base
	v_dual_mov_b32 v31, v40 :: v_dual_mov_b32 v0, v41
	v_mov_b32_e32 v3, s1
	s_mov_b64 s[8:9], s[40:41]
	s_mov_b32 s12, s42
	s_swap_pc_i64 s[30:31], s[44:45]
	s_branch .LBB7_2
.LBB7_8:
	s_clause 0x1
	scratch_load_b32 v41, off, s33
	scratch_load_b32 v40, off, s33 offset:4
	v_readlane_b32 s30, v42, 0
	v_readlane_b32 s31, v42, 1
	s_mov_b32 s32, s33
	s_wait_xcnt 0x0
	s_or_saveexec_b32 s0, -1
	scratch_load_b32 v42, off, s33 offset:8 ; 4-byte Folded Reload
	s_wait_xcnt 0x0
	s_mov_b32 exec_lo, s0
	s_mov_b32 s33, s47
	s_wait_loadcnt 0x0
	s_set_pc_i64 s[30:31]
.Lfunc_end7:
	.size	_Z42ncclDevFunc_Broadcast_RING_LL_Sum_i8_0_0_2v, .Lfunc_end7-_Z42ncclDevFunc_Broadcast_RING_LL_Sum_i8_0_0_2v
                                        ; -- End function
	.set .L_Z42ncclDevFunc_Broadcast_RING_LL_Sum_i8_0_0_2v.num_vgpr, max(43, .L_ZN12_GLOBAL__N_17runRingIa7FuncSumIaE7ProtoLLLi0ELi2ELi0EEEviiP15ncclDevWorkColl.num_vgpr)
	.set .L_Z42ncclDevFunc_Broadcast_RING_LL_Sum_i8_0_0_2v.num_agpr, max(0, .L_ZN12_GLOBAL__N_17runRingIa7FuncSumIaE7ProtoLLLi0ELi2ELi0EEEviiP15ncclDevWorkColl.num_agpr)
	.set .L_Z42ncclDevFunc_Broadcast_RING_LL_Sum_i8_0_0_2v.numbered_sgpr, max(48, .L_ZN12_GLOBAL__N_17runRingIa7FuncSumIaE7ProtoLLLi0ELi2ELi0EEEviiP15ncclDevWorkColl.numbered_sgpr)
	.set .L_Z42ncclDevFunc_Broadcast_RING_LL_Sum_i8_0_0_2v.num_named_barrier, max(0, .L_ZN12_GLOBAL__N_17runRingIa7FuncSumIaE7ProtoLLLi0ELi2ELi0EEEviiP15ncclDevWorkColl.num_named_barrier)
	.set .L_Z42ncclDevFunc_Broadcast_RING_LL_Sum_i8_0_0_2v.private_seg_size, 16+max(.L_ZN12_GLOBAL__N_17runRingIa7FuncSumIaE7ProtoLLLi0ELi2ELi0EEEviiP15ncclDevWorkColl.private_seg_size)
	.set .L_Z42ncclDevFunc_Broadcast_RING_LL_Sum_i8_0_0_2v.uses_vcc, or(1, .L_ZN12_GLOBAL__N_17runRingIa7FuncSumIaE7ProtoLLLi0ELi2ELi0EEEviiP15ncclDevWorkColl.uses_vcc)
	.set .L_Z42ncclDevFunc_Broadcast_RING_LL_Sum_i8_0_0_2v.uses_flat_scratch, or(1, .L_ZN12_GLOBAL__N_17runRingIa7FuncSumIaE7ProtoLLLi0ELi2ELi0EEEviiP15ncclDevWorkColl.uses_flat_scratch)
	.set .L_Z42ncclDevFunc_Broadcast_RING_LL_Sum_i8_0_0_2v.has_dyn_sized_stack, or(0, .L_ZN12_GLOBAL__N_17runRingIa7FuncSumIaE7ProtoLLLi0ELi2ELi0EEEviiP15ncclDevWorkColl.has_dyn_sized_stack)
	.set .L_Z42ncclDevFunc_Broadcast_RING_LL_Sum_i8_0_0_2v.has_recursion, or(1, .L_ZN12_GLOBAL__N_17runRingIa7FuncSumIaE7ProtoLLLi0ELi2ELi0EEEviiP15ncclDevWorkColl.has_recursion)
	.set .L_Z42ncclDevFunc_Broadcast_RING_LL_Sum_i8_0_0_2v.has_indirect_call, or(0, .L_ZN12_GLOBAL__N_17runRingIa7FuncSumIaE7ProtoLLLi0ELi2ELi0EEEviiP15ncclDevWorkColl.has_indirect_call)
	.section	.AMDGPU.csdata,"",@progbits
; Function info:
; codeLenInByte = 436
; TotalNumSgprs: 50
; NumVgprs: 120
; ScratchSize: 16
; MemoryBound: 0
	.text
	.p2align	2                               ; -- Begin function _ZN12_GLOBAL__N_17runRingIa7FuncSumIaE11ProtoSimpleILi1ELi1ELi0ELi2ELi0ELi0EELi0ELi2ELi0EEEviiP15ncclDevWorkColl
	.type	_ZN12_GLOBAL__N_17runRingIa7FuncSumIaE11ProtoSimpleILi1ELi1ELi0ELi2ELi0ELi0EELi0ELi2ELi0EEEviiP15ncclDevWorkColl,@function
_ZN12_GLOBAL__N_17runRingIa7FuncSumIaE11ProtoSimpleILi1ELi1ELi0ELi2ELi0ELi0EELi0ELi2ELi0EEEviiP15ncclDevWorkColl: ; @_ZN12_GLOBAL__N_17runRingIa7FuncSumIaE11ProtoSimpleILi1ELi1ELi0ELi2ELi0ELi0EELi0ELi2ELi0EEEviiP15ncclDevWorkColl
; %bb.0:
	s_wait_loadcnt_dscnt 0x0
	s_wait_kmcnt 0x0
	s_mov_b32 s60, s33
	s_mov_b32 s33, s32
	s_or_saveexec_b32 s0, -1
	scratch_store_b32 off, v72, s33 offset:64 ; 4-byte Folded Spill
	s_wait_xcnt 0x0
	s_mov_b32 exec_lo, s0
	s_addk_co_i32 s32, 0x50
	s_clause 0xf
	scratch_store_b32 off, v40, s33 offset:60
	; meta instruction
	scratch_store_b32 off, v41, s33 offset:56
	; meta instruction
	;; [unrolled: 2-line block ×15, first 2 shown]
	scratch_store_b32 off, v63, s33
	v_writelane_b32 v72, s30, 0
	v_writelane_b32 v72, s31, 1
	s_trap 2
	ds_load_b64 v[4:5], v0
	s_clause 0x1
	flat_load_b64 v[16:17], v[2:3]
	flat_load_u16 v9, v[2:3] offset:8
	ds_load_b32 v6, v0
	s_mov_b32 s0, exec_lo
                                        ; implicit-def: $vgpr34_vgpr35
                                        ; implicit-def: $vgpr14_vgpr15
	s_wait_dscnt 0x3
	flat_load_b64 v[36:37], v[4:5]
                                        ; implicit-def: $vgpr4_vgpr5
	s_wait_loadcnt_dscnt 0x203
	v_and_b32_e32 v7, 0xff, v16
	v_mov_b32_e32 v8, v17
	s_wait_dscnt 0x1
	s_wait_xcnt 0x0
	s_delay_alu instid0(VALU_DEP_2)
	v_cmpx_ne_u32_e64 v6, v7
	s_xor_b32 s0, exec_lo, s0
	s_cbranch_execz .LBB8_6
; %bb.1:
	v_bfe_u32 v11, v16, 8, 8
	v_not_b32_e32 v10, v7
	s_mov_b32 s1, exec_lo
                                        ; implicit-def: $vgpr34_vgpr35
                                        ; implicit-def: $vgpr4_vgpr5
                                        ; implicit-def: $vgpr14_vgpr15
	s_delay_alu instid0(VALU_DEP_2)
	v_cmpx_ne_u32_e64 v6, v11
	s_xor_b32 s1, exec_lo, s1
	s_cbranch_execz .LBB8_3
; %bb.2:
	s_clause 0x1
	flat_load_b128 v[18:21], v[2:3] offset:72
	flat_load_b64 v[4:5], v[2:3] offset:96
	v_add_nc_u32_e32 v6, v6, v10
                                        ; implicit-def: $vgpr11
                                        ; implicit-def: $vgpr10
	s_wait_loadcnt_dscnt 0x101
	s_delay_alu instid0(VALU_DEP_1) | instskip(SKIP_3) | instid1(VALU_DEP_3)
	v_mad_nc_u64_u32 v[14:15], v20, v6, v[18:19]
	s_wait_loadcnt_dscnt 0x0
	v_lshrrev_b64 v[34:35], 21, v[4:5]
	v_mov_b64_e32 v[4:5], v[20:21]
	v_mad_u32 v7, v21, v6, v15
	v_ashrrev_i32_e32 v6, 31, v6
	s_delay_alu instid0(VALU_DEP_1)
	v_mad_u32 v15, v20, v6, v7
.LBB8_3:
	s_wait_xcnt 0x0
	s_and_not1_saveexec_b32 s1, s1
	s_cbranch_execz .LBB8_5
; %bb.4:
	s_clause 0x1
	flat_load_b128 v[18:21], v[2:3] offset:72
	flat_load_b128 v[4:7], v[2:3] offset:88
	s_wait_loadcnt_dscnt 0x0
	v_dual_add_nc_u32 v6, v11, v10 :: v_dual_lshrrev_b32 v34, 10, v7
	s_delay_alu instid0(VALU_DEP_1) | instskip(NEXT) | instid1(VALU_DEP_1)
	v_mad_nc_u64_u32 v[14:15], v20, v6, v[18:19]
	v_mad_u32 v10, v21, v6, v15
	v_ashrrev_i32_e32 v6, 31, v6
	s_delay_alu instid0(VALU_DEP_1)
	v_mad_u32 v15, v20, v6, v10
.LBB8_5:
	s_wait_xcnt 0x0
	s_or_b32 exec_lo, exec_lo, s1
.LBB8_6:
	s_and_not1_saveexec_b32 s0, s0
	s_cbranch_execz .LBB8_8
; %bb.7:
	s_clause 0x1
	flat_load_b64 v[4:5], v[2:3] offset:72
	flat_load_b64 v[34:35], v[2:3] offset:96
	v_mov_b64_e32 v[14:15], 0
.LBB8_8:
	s_wait_xcnt 0x0
	s_or_b32 exec_lo, exec_lo, s0
	flat_load_b128 v[10:13], v[2:3] offset:16
	v_and_b32_e32 v6, 0x44000000, v16
	v_bfe_u32 v23, v8, 1, 30
	s_mov_b32 s0, exec_lo
	s_delay_alu instid0(VALU_DEP_2) | instskip(NEXT) | instid1(VALU_DEP_1)
	v_cmp_eq_u32_e64 s7, 0x44000000, v6
	v_cndmask_b32_e64 v30, v1, 32, s7
	s_wait_xcnt 0x0
	s_delay_alu instid0(VALU_DEP_1)
	v_cmpx_ge_i32_e64 v0, v30
	s_xor_b32 s1, exec_lo, s0
	s_cbranch_execz .LBB8_38
; %bb.9:
	s_wait_loadcnt_dscnt 0x0
	v_cmp_ne_u64_e32 vcc_lo, v[12:13], v[10:11]
	v_cmp_eq_u32_e64 s0, v36, v23
	s_and_b32 s2, vcc_lo, s0
	s_delay_alu instid0(SALU_CYCLE_1)
	s_and_saveexec_b32 s0, s2
	s_cbranch_execz .LBB8_37
; %bb.10:
	v_sub_nc_u32_e32 v27, v0, v30
	v_add_nc_u64_e32 v[8:9], v[10:11], v[14:15]
	s_mov_b32 s2, 0
	s_mov_b32 s3, exec_lo
	s_delay_alu instid0(VALU_DEP_2) | instskip(NEXT) | instid1(VALU_DEP_1)
	v_ashrrev_i16 v0, 15, v27
	v_lshrrev_b16 v0, 11, v0
	s_delay_alu instid0(VALU_DEP_1) | instskip(NEXT) | instid1(VALU_DEP_1)
	v_add_nc_u16 v0, v27, v0
	v_and_b32_e32 v2, 0xffffffe0, v0
	s_delay_alu instid0(VALU_DEP_1) | instskip(SKIP_1) | instid1(VALU_DEP_2)
	v_sub_nc_u16 v16, v27, v2
	v_add_nc_u64_e32 v[2:3], v[12:13], v[14:15]
	v_cmpx_gt_i16_e32 1, v16
; %bb.11:
	s_delay_alu instid0(VALU_DEP_2) | instskip(NEXT) | instid1(VALU_DEP_1)
	v_bitop3_b32 v6, v2, 15, v8 bitop3:0xc8
	v_cmp_ne_u32_e32 vcc_lo, 0, v6
	s_and_b32 s2, vcc_lo, exec_lo
; %bb.12:
	s_or_b32 exec_lo, exec_lo, s3
	v_cndmask_b32_e64 v6, 0, 1, s2
	v_sub_nc_u32_e32 v26, v1, v30
	s_delay_alu instid0(VALU_DEP_2)
	v_cmp_ne_u32_e32 vcc_lo, 0, v6
	s_cbranch_vccz .LBB8_14
; %bb.13:
	v_mov_b64_e32 v[0:1], 0
	s_mov_b32 s3, -1
	s_delay_alu instid0(SALU_CYCLE_1)
	s_and_b32 exec_lo, exec_lo, s3
	s_cbranch_execnz .LBB8_29
	s_branch .LBB8_37
.LBB8_14:
	v_dual_ashrrev_i32 v1, 31, v5 :: v_dual_mov_b32 v7, 0
	v_ashrrev_i16 v17, 5, v0
	v_bfe_i32 v22, v16, 0, 16
	s_mov_b32 s3, 0
	s_mov_b32 s2, exec_lo
	s_delay_alu instid0(VALU_DEP_2) | instskip(NEXT) | instid1(VALU_DEP_1)
	v_bfe_i32 v18, v17, 0, 16
	v_dual_lshrrev_b32 v6, 21, v1 :: v_dual_ashrrev_i32 v19, 31, v18
	s_delay_alu instid0(VALU_DEP_1) | instskip(NEXT) | instid1(VALU_DEP_1)
	v_add_nc_u64_e32 v[0:1], v[4:5], v[6:7]
	v_ashrrev_i64 v[0:1], 11, v[0:1]
	s_delay_alu instid0(VALU_DEP_1) | instskip(NEXT) | instid1(VALU_DEP_1)
	v_sub_nc_u64_e32 v[6:7], v[0:1], v[18:19]
	v_cmpx_lt_i64_e32 0, v[6:7]
	s_cbranch_execz .LBB8_18
; %bb.15:
	v_ashrrev_i16 v16, 15, v26
	s_delay_alu instid0(VALU_DEP_1) | instskip(NEXT) | instid1(VALU_DEP_1)
	v_lshrrev_b16 v16, 11, v16
	v_add_nc_u16 v16, v26, v16
	s_delay_alu instid0(VALU_DEP_1) | instskip(NEXT) | instid1(VALU_DEP_1)
	v_ashrrev_i16 v16, 5, v16
	v_bfe_i32 v16, v16, 0, 16
	s_delay_alu instid0(VALU_DEP_1) | instskip(NEXT) | instid1(VALU_DEP_1)
	v_dual_lshlrev_b32 v17, 4, v22 :: v_dual_lshlrev_b32 v20, 11, v16
	v_lshl_add_u32 v18, v18, 11, v17
	v_ashrrev_i32_e32 v17, 31, v16
	s_delay_alu instid0(VALU_DEP_2)
	v_dual_ashrrev_i32 v21, 31, v20 :: v_dual_ashrrev_i32 v19, 31, v18
.LBB8_16:                               ; =>This Inner Loop Header: Depth=1
	s_delay_alu instid0(VALU_DEP_1) | instskip(NEXT) | instid1(VALU_DEP_3)
	v_add_nc_u64_e32 v[24:25], v[18:19], v[2:3]
	v_sub_nc_u64_e32 v[6:7], v[6:7], v[16:17]
	s_delay_alu instid0(VALU_DEP_3)
	v_add_nc_u64_e32 v[2:3], v[2:3], v[20:21]
	s_clause 0x3
	global_load_b128 v[28:31], v[24:25], off th:TH_LOAD_NT
	global_load_b128 v[32:35], v[24:25], off offset:512 th:TH_LOAD_NT
	global_load_b128 v[36:39], v[24:25], off offset:1024 th:TH_LOAD_NT
	;; [unrolled: 1-line block ×3, first 2 shown]
	v_cmp_gt_i64_e32 vcc_lo, 1, v[6:7]
	s_wait_xcnt 0x0
	v_add_nc_u64_e32 v[24:25], v[18:19], v[8:9]
	v_add_nc_u64_e32 v[8:9], v[8:9], v[20:21]
	s_wait_loadcnt 0x3
	global_store_b128 v[24:25], v[28:31], off th:TH_STORE_NT
	s_wait_loadcnt 0x2
	global_store_b128 v[24:25], v[32:35], off offset:512 th:TH_STORE_NT
	s_wait_loadcnt 0x1
	global_store_b128 v[24:25], v[36:39], off offset:1024 th:TH_STORE_NT
	s_wait_loadcnt 0x0
	global_store_b128 v[24:25], v[48:51], off offset:1536 th:TH_STORE_NT
	s_or_b32 s3, vcc_lo, s3
	s_wait_xcnt 0x0
	s_and_not1_b32 exec_lo, exec_lo, s3
	s_cbranch_execnz .LBB8_16
; %bb.17:
	s_or_b32 exec_lo, exec_lo, s3
.LBB8_18:
	s_delay_alu instid0(SALU_CYCLE_1) | instskip(SKIP_4) | instid1(VALU_DEP_2)
	s_or_b32 exec_lo, exec_lo, s2
	v_lshlrev_b64_e32 v[8:9], 11, v[0:1]
	v_mov_b64_e32 v[0:1], 0
	s_mov_b32 s3, 0
	s_mov_b32 s2, exec_lo
                                        ; implicit-def: $vgpr2_vgpr3
                                        ; implicit-def: $vgpr27
	v_cmpx_ne_u64_e64 v[4:5], v[8:9]
	s_cbranch_execz .LBB8_28
; %bb.19:
	v_sub_nc_u64_e32 v[16:17], v[4:5], v[8:9]
	s_mov_b32 s3, exec_lo
	s_delay_alu instid0(VALU_DEP_1) | instskip(NEXT) | instid1(VALU_DEP_1)
	v_dual_mov_b32 v21, 0 :: v_dual_ashrrev_i32 v0, 31, v17
	v_lshrrev_b32_e32 v20, 23, v0
	s_delay_alu instid0(VALU_DEP_1) | instskip(NEXT) | instid1(VALU_DEP_1)
	v_add_nc_u64_e32 v[0:1], v[16:17], v[20:21]
	v_ashrrev_i64 v[18:19], 9, v[0:1]
	v_and_b32_e32 v0, 0xfffffe00, v0
	s_delay_alu instid0(VALU_DEP_1) | instskip(SKIP_1) | instid1(VALU_DEP_2)
	v_sub_nc_u64_e32 v[2:3], v[16:17], v[0:1]
	v_add_nc_u64_e32 v[0:1], v[0:1], v[8:9]
	v_cmpx_lt_i64_e32 15, v[2:3]
; %bb.20:
	v_and_b32_e32 v20, 15, v4
	v_add_nc_u64_e32 v[18:19], 1, v[18:19]
	s_delay_alu instid0(VALU_DEP_2) | instskip(NEXT) | instid1(VALU_DEP_1)
	v_sub_nc_u64_e32 v[2:3], v[2:3], v[20:21]
	v_add_nc_u64_e32 v[0:1], v[2:3], v[0:1]
	v_mov_b64_e32 v[2:3], v[20:21]
; %bb.21:
	s_or_b32 exec_lo, exec_lo, s3
	v_lshlrev_b32_e32 v4, 5, v6
	s_mov_b32 s3, exec_lo
	s_delay_alu instid0(VALU_DEP_1) | instskip(NEXT) | instid1(VALU_DEP_1)
	v_sub_nc_u32_e32 v4, v22, v4
	v_ashrrev_i32_e32 v5, 31, v4
	s_delay_alu instid0(VALU_DEP_1) | instskip(NEXT) | instid1(VALU_DEP_1)
	v_lshrrev_b32_e32 v5, 27, v5
	v_add_nc_u32_e32 v5, v4, v5
	s_delay_alu instid0(VALU_DEP_1) | instskip(NEXT) | instid1(VALU_DEP_1)
	v_and_b32_e32 v6, 0xffffffe0, v5
	v_dual_sub_nc_u32 v22, v4, v6 :: v_dual_ashrrev_i32 v4, 5, v5
	s_delay_alu instid0(VALU_DEP_1) | instskip(NEXT) | instid1(VALU_DEP_1)
	v_lshlrev_b32_e32 v5, 4, v22
	v_lshl_add_u32 v20, v4, 9, v5
	v_ashrrev_i32_e32 v5, 31, v4
	s_delay_alu instid0(VALU_DEP_2) | instskip(NEXT) | instid1(VALU_DEP_2)
	v_ashrrev_i32_e32 v21, 31, v20
	v_sub_nc_u64_e32 v[4:5], v[18:19], v[4:5]
	s_delay_alu instid0(VALU_DEP_2) | instskip(NEXT) | instid1(VALU_DEP_1)
	v_sub_nc_u64_e32 v[6:7], v[16:17], v[20:21]
	v_cmpx_lt_i64_e32 15, v[6:7]
	s_cbranch_execz .LBB8_25
; %bb.22:
	v_ashrrev_i16 v16, 15, v26
	v_add_nc_u64_e32 v[18:19], v[14:15], v[8:9]
	s_mov_b32 s4, 0
	s_delay_alu instid0(VALU_DEP_2) | instskip(NEXT) | instid1(VALU_DEP_2)
	v_lshrrev_b16 v16, 11, v16
	v_add_nc_u64_e32 v[18:19], v[18:19], v[20:21]
	s_delay_alu instid0(VALU_DEP_2) | instskip(NEXT) | instid1(VALU_DEP_1)
	v_add_nc_u16 v16, v26, v16
	v_ashrrev_i16 v16, 5, v16
	s_delay_alu instid0(VALU_DEP_1) | instskip(NEXT) | instid1(VALU_DEP_1)
	v_bfe_i32 v16, v16, 0, 16
	v_dual_lshlrev_b32 v8, 9, v16 :: v_dual_ashrrev_i32 v17, 31, v16
	s_delay_alu instid0(VALU_DEP_1)
	v_ashrrev_i32_e32 v9, 31, v8
.LBB8_23:                               ; =>This Inner Loop Header: Depth=1
	v_add_nc_u64_e32 v[20:21], v[12:13], v[18:19]
	s_delay_alu instid0(VALU_DEP_2) | instskip(NEXT) | instid1(VALU_DEP_4)
	v_sub_nc_u64_e32 v[6:7], v[6:7], v[8:9]
	v_sub_nc_u64_e32 v[4:5], v[4:5], v[16:17]
	global_load_b128 v[28:31], v[20:21], off th:TH_LOAD_NT
	v_cmp_gt_i64_e32 vcc_lo, 16, v[6:7]
	s_wait_xcnt 0x0
	v_add_nc_u64_e32 v[20:21], v[10:11], v[18:19]
	v_add_nc_u64_e32 v[18:19], v[18:19], v[8:9]
	s_or_b32 s4, vcc_lo, s4
	s_wait_loadcnt 0x0
	global_store_b128 v[20:21], v[28:31], off th:TH_STORE_NT
	s_wait_xcnt 0x0
	s_and_not1_b32 exec_lo, exec_lo, s4
	s_cbranch_execnz .LBB8_23
; %bb.24:
	s_or_b32 exec_lo, exec_lo, s4
.LBB8_25:
	s_delay_alu instid0(SALU_CYCLE_1) | instskip(NEXT) | instid1(SALU_CYCLE_1)
	s_or_b32 exec_lo, exec_lo, s3
	s_mov_b32 s3, exec_lo
	s_delay_alu instid0(VALU_DEP_3)
	v_cmpx_lt_i64_e32 0, v[4:5]
	s_cbranch_execz .LBB8_27
; %bb.26:
	v_ashrrev_i16 v6, 15, v26
	s_delay_alu instid0(VALU_DEP_1) | instskip(NEXT) | instid1(VALU_DEP_1)
	v_lshrrev_b16 v6, 11, v6
	v_add_nc_u16 v6, v26, v6
	s_delay_alu instid0(VALU_DEP_1) | instskip(NEXT) | instid1(VALU_DEP_1)
	v_ashrrev_i16 v6, 5, v6
	v_bfe_i32 v6, v6, 0, 16
	s_delay_alu instid0(VALU_DEP_1) | instskip(NEXT) | instid1(VALU_DEP_1)
	v_ashrrev_i32_e32 v7, 31, v6
	v_sub_nc_u64_e32 v[4:5], v[4:5], v[6:7]
.LBB8_27:
	s_or_b32 exec_lo, exec_lo, s3
	s_delay_alu instid0(VALU_DEP_1) | instskip(SKIP_1) | instid1(VALU_DEP_2)
	v_lshlrev_b32_e32 v4, 5, v4
	v_cmp_ne_u64_e32 vcc_lo, 0, v[2:3]
	v_sub_nc_u32_e32 v27, v22, v4
	s_and_b32 s3, vcc_lo, exec_lo
.LBB8_28:
	s_or_b32 exec_lo, exec_lo, s2
	v_mov_b64_e32 v[4:5], v[2:3]
	s_and_b32 exec_lo, exec_lo, s3
	s_cbranch_execz .LBB8_37
.LBB8_29:
	s_delay_alu instid0(VALU_DEP_1) | instskip(SKIP_1) | instid1(VALU_DEP_1)
	v_dual_ashrrev_i32 v2, 31, v27 :: v_dual_ashrrev_i32 v3, 31, v5
	s_mov_b32 s2, exec_lo
	v_dual_lshrrev_b32 v6, 27, v2 :: v_dual_lshrrev_b32 v2, 23, v3
	s_delay_alu instid0(VALU_DEP_1) | instskip(NEXT) | instid1(VALU_DEP_1)
	v_dual_mov_b32 v3, 0 :: v_dual_add_nc_u32 v16, v27, v6
	v_add_nc_u64_e32 v[6:7], v[4:5], v[2:3]
	s_delay_alu instid0(VALU_DEP_2) | instskip(NEXT) | instid1(VALU_DEP_2)
	v_ashrrev_i32_e32 v2, 5, v16
	v_ashrrev_i64 v[8:9], 9, v[6:7]
	s_delay_alu instid0(VALU_DEP_2) | instskip(NEXT) | instid1(VALU_DEP_1)
	v_ashrrev_i32_e32 v3, 31, v2
	v_sub_nc_u64_e32 v[6:7], v[8:9], v[2:3]
	s_delay_alu instid0(VALU_DEP_1)
	v_cmpx_lt_i64_e32 0, v[6:7]
	s_cbranch_execz .LBB8_33
; %bb.30:
	v_ashrrev_i16 v3, 15, v26
	v_and_b32_e32 v16, 0xffffffe0, v16
	v_add_nc_u64_e32 v[24:25], v[14:15], v[0:1]
	s_mov_b32 s3, 0
	s_delay_alu instid0(VALU_DEP_3) | instskip(NEXT) | instid1(VALU_DEP_3)
	v_lshrrev_b16 v3, 11, v3
	v_sub_nc_u32_e32 v17, v27, v16
	s_delay_alu instid0(VALU_DEP_3) | instskip(NEXT) | instid1(VALU_DEP_3)
	v_add_nc_u64_e32 v[22:23], v[24:25], v[12:13]
	v_add_nc_u16 v3, v26, v3
	v_add_nc_u64_e32 v[24:25], v[24:25], v[10:11]
	s_delay_alu instid0(VALU_DEP_2) | instskip(NEXT) | instid1(VALU_DEP_1)
	v_ashrrev_i16 v3, 5, v3
	v_bfe_i32 v16, v3, 0, 16
	s_delay_alu instid0(VALU_DEP_1) | instskip(SKIP_2) | instid1(VALU_DEP_2)
	v_lshlrev_b32_e32 v20, 9, v16
	v_lshl_add_u32 v18, v2, 9, v17
	v_ashrrev_i32_e32 v17, 31, v16
	v_dual_ashrrev_i32 v21, 31, v20 :: v_dual_ashrrev_i32 v19, 31, v18
.LBB8_31:                               ; =>This Inner Loop Header: Depth=1
	s_delay_alu instid0(VALU_DEP_1) | instskip(NEXT) | instid1(VALU_DEP_3)
	v_add_nc_u64_e32 v[28:29], v[18:19], v[22:23]
	v_sub_nc_u64_e32 v[6:7], v[6:7], v[16:17]
	s_delay_alu instid0(VALU_DEP_3)
	v_add_nc_u64_e32 v[22:23], v[22:23], v[20:21]
	s_clause 0xf
	flat_load_u8 v3, v[28:29] th:TH_LOAD_NT
	flat_load_u8 v30, v[28:29] offset:32 th:TH_LOAD_NT
	flat_load_u8 v31, v[28:29] offset:64 th:TH_LOAD_NT
	;; [unrolled: 1-line block ×15, first 2 shown]
	v_cmp_gt_i64_e32 vcc_lo, 1, v[6:7]
	s_wait_xcnt 0x0
	v_add_nc_u64_e32 v[28:29], v[18:19], v[24:25]
	v_add_nc_u64_e32 v[24:25], v[24:25], v[20:21]
	s_wait_loadcnt_dscnt 0xf0f
	flat_store_b8 v[28:29], v3 th:TH_STORE_NT
	s_wait_loadcnt_dscnt 0xe0f
	flat_store_b8 v[28:29], v30 offset:32 th:TH_STORE_NT
	s_wait_loadcnt_dscnt 0xd0f
	flat_store_b8 v[28:29], v31 offset:64 th:TH_STORE_NT
	;; [unrolled: 2-line block ×15, first 2 shown]
	s_or_b32 s3, vcc_lo, s3
	s_wait_xcnt 0x0
	s_and_not1_b32 exec_lo, exec_lo, s3
	s_cbranch_execnz .LBB8_31
; %bb.32:
	s_or_b32 exec_lo, exec_lo, s3
.LBB8_33:
	s_delay_alu instid0(SALU_CYCLE_1) | instskip(SKIP_1) | instid1(VALU_DEP_1)
	s_or_b32 exec_lo, exec_lo, s2
	v_lshlrev_b64_e32 v[8:9], 9, v[8:9]
	v_cmp_ne_u64_e32 vcc_lo, v[4:5], v[8:9]
	s_and_b32 exec_lo, exec_lo, vcc_lo
	s_cbranch_execz .LBB8_37
; %bb.34:
	v_lshlrev_b32_e32 v2, 5, v2
	v_lshlrev_b32_e32 v3, 5, v6
	s_delay_alu instid0(VALU_DEP_2) | instskip(NEXT) | instid1(VALU_DEP_1)
	v_sub_nc_u32_e32 v2, v27, v2
	v_sub_nc_u32_e32 v6, v2, v3
	s_delay_alu instid0(VALU_DEP_1) | instskip(NEXT) | instid1(VALU_DEP_1)
	v_ashrrev_i32_e32 v7, 31, v6
	v_add_nc_u64_e32 v[2:3], v[8:9], v[6:7]
	s_delay_alu instid0(VALU_DEP_1) | instskip(NEXT) | instid1(VALU_DEP_1)
	v_sub_nc_u64_e32 v[2:3], v[4:5], v[2:3]
	v_cmp_lt_i64_e32 vcc_lo, 0, v[2:3]
	s_and_b32 exec_lo, exec_lo, vcc_lo
	s_cbranch_execz .LBB8_37
; %bb.35:
	v_ashrrev_i16 v4, 15, v26
	v_add_nc_u64_e32 v[0:1], v[14:15], v[0:1]
	s_mov_b32 s2, 0
	s_delay_alu instid0(VALU_DEP_2) | instskip(NEXT) | instid1(VALU_DEP_1)
	v_lshrrev_b16 v4, 11, v4
	v_add_nc_u16 v4, v26, v4
	s_delay_alu instid0(VALU_DEP_1) | instskip(NEXT) | instid1(VALU_DEP_1)
	v_ashrrev_i16 v4, 5, v4
	v_bfe_i32 v14, v4, 0, 16
	v_add_nc_u64_e32 v[4:5], v[0:1], v[8:9]
	s_delay_alu instid0(VALU_DEP_2) | instskip(NEXT) | instid1(VALU_DEP_2)
	v_lshlrev_b32_e32 v0, 5, v14
	v_add_nc_u64_e32 v[4:5], v[4:5], v[6:7]
	s_delay_alu instid0(VALU_DEP_2)
	v_ashrrev_i32_e32 v1, 31, v0
.LBB8_36:                               ; =>This Inner Loop Header: Depth=1
	s_delay_alu instid0(VALU_DEP_2) | instskip(NEXT) | instid1(VALU_DEP_2)
	v_add_nc_u64_e32 v[6:7], v[12:13], v[4:5]
	v_sub_nc_u64_e32 v[2:3], v[2:3], v[0:1]
	flat_load_u8 v8, v[6:7] th:TH_LOAD_NT
	v_cmp_gt_i64_e32 vcc_lo, 1, v[2:3]
	s_wait_xcnt 0x0
	v_add_nc_u64_e32 v[6:7], v[10:11], v[4:5]
	v_add_nc_u64_e32 v[4:5], v[4:5], v[0:1]
	s_or_b32 s2, vcc_lo, s2
	s_wait_loadcnt_dscnt 0x0
	flat_store_b8 v[6:7], v8 th:TH_STORE_NT
	s_wait_xcnt 0x0
	s_and_not1_b32 exec_lo, exec_lo, s2
	s_cbranch_execnz .LBB8_36
.LBB8_37:
	s_or_b32 exec_lo, exec_lo, s0
                                        ; implicit-def: $vgpr36_vgpr37
                                        ; implicit-def: $vgpr14_vgpr15
                                        ; implicit-def: $vgpr4_vgpr5
                                        ; implicit-def: $vgpr34_vgpr35
                                        ; implicit-def: $vgpr23
                                        ; implicit-def: $vgpr30
                                        ; implicit-def: $vgpr0
                                        ; implicit-def: $vgpr31
                                        ; implicit-def: $vgpr12_vgpr13
                                        ; implicit-def: $vgpr8_vgpr9
                                        ; implicit-def: $vgpr2_vgpr3
.LBB8_38:
	s_and_not1_saveexec_b32 s22, s1
	s_cbranch_execz .LBB8_1037
; %bb.39:
	s_trap 2
	ds_load_b64 v[6:7], v0
	s_mov_b32 s1, 0
	s_mov_b32 s2, exec_lo
	s_wait_dscnt 0x0
	v_cmp_ne_u32_e32 vcc_lo, -1, v6
	v_cndmask_b32_e64 v69, 0, 1, vcc_lo
	v_cmp_ne_u32_e32 vcc_lo, -1, v7
	s_delay_alu instid0(VALU_DEP_2) | instskip(NEXT) | instid1(VALU_DEP_1)
	v_add_co_ci_u32_e64 v6, null, 0, v69, vcc_lo
	v_lshlrev_b32_e32 v1, 1, v6
	s_delay_alu instid0(VALU_DEP_1)
	v_cmpx_le_u32_e64 v1, v30
	s_xor_b32 s23, exec_lo, s2
	s_cbranch_execz .LBB8_1034
; %bb.40:
	flat_load_b64 v[26:27], v[2:3] offset:104
	s_trap 2
	s_load_b32 s0, s[8:9], 0x0
	s_bfe_u32 s2, ttmp6, 0x4000c
	s_and_b32 s3, ttmp6, 15
	s_add_co_i32 s2, s2, 1
	s_getreg_b32 s4, hwreg(HW_REG_IB_STS2, 6, 4)
	s_mul_i32 s2, ttmp9, s2
	v_dual_mov_b32 v1, 0 :: v_dual_mov_b32 v114, 4
	s_add_co_i32 s3, s3, s2
	s_cmp_eq_u32 s4, 0
	ds_load_b32 v7, v0
	s_cselect_b32 s2, ttmp9, s3
	s_wait_kmcnt 0x0
	s_cmp_lt_u32 s2, s0
	s_cselect_b32 s0, 12, 18
	s_delay_alu instid0(SALU_CYCLE_1)
	s_add_nc_u64 s[0:1], s[8:9], s[0:1]
	global_load_u16 v1, v1, s[0:1]
	s_wait_xcnt 0x0
	s_mov_b32 s1, exec_lo
	s_wait_dscnt 0x0
	v_readfirstlane_b32 s10, v7
	v_cmpx_ge_i32_e64 v0, v69
	s_cbranch_execz .LBB8_50
; %bb.41:
	v_cmp_ge_u32_e64 s0, v0, v6
                                        ; implicit-def: $vgpr114
	s_and_saveexec_b32 s2, s0
	s_delay_alu instid0(SALU_CYCLE_1)
	s_xor_b32 s0, exec_lo, s2
	s_cbranch_execz .LBB8_47
; %bb.42:
	v_cndmask_b32_e64 v7, 0, 1, vcc_lo
	s_mov_b32 s2, exec_lo
	s_delay_alu instid0(VALU_DEP_1) | instskip(NEXT) | instid1(VALU_DEP_1)
	v_sub_nc_u32_e32 v7, v30, v7
	v_cmpx_ge_u32_e64 v0, v7
	s_xor_b32 s2, exec_lo, s2
; %bb.43:
                                        ; implicit-def: $vgpr6
; %bb.44:
	s_delay_alu instid0(SALU_CYCLE_1)
	s_or_saveexec_b32 s2, s2
	v_mov_b32_e32 v114, 16
	s_xor_b32 exec_lo, exec_lo, s2
; %bb.45:
	v_sub_nc_u32_e32 v6, v30, v6
	s_delay_alu instid0(VALU_DEP_1)
	v_cmp_lt_i32_e32 vcc_lo, v0, v6
	v_cndmask_b32_e64 v114, 32, 0, vcc_lo
; %bb.46:
	s_or_b32 exec_lo, exec_lo, s2
.LBB8_47:
	s_and_not1_saveexec_b32 s0, s0
; %bb.48:
	v_mov_b32_e32 v114, 8
; %bb.49:
	s_or_b32 exec_lo, exec_lo, s0
.LBB8_50:
	s_delay_alu instid0(SALU_CYCLE_1) | instskip(SKIP_1) | instid1(VALU_DEP_1)
	s_or_b32 exec_lo, exec_lo, s1
	s_wait_loadcnt 0x3
	v_dual_mov_b32 v35, -1 :: v_dual_bitop2_b32 v6, 36, v114 bitop3:0x40
	s_delay_alu instid0(VALU_DEP_1)
	v_cmp_ne_u32_e32 vcc_lo, 0, v6
	s_and_saveexec_b32 s0, vcc_lo
	s_cbranch_execz .LBB8_52
; %bb.51:
	s_trap 2
	ds_load_b32 v35, v0
.LBB8_52:
	s_or_b32 exec_lo, exec_lo, s0
	v_and_b32_e32 v6, 24, v114
	s_mov_b32 s1, exec_lo
	s_delay_alu instid0(VALU_DEP_1)
	v_cmpx_ne_u32_e32 0, v6
	s_cbranch_execz .LBB8_54
; %bb.53:
	s_trap 2
	s_wait_dscnt 0x0
	ds_load_b32 v35, v0
.LBB8_54:
	s_or_b32 exec_lo, exec_lo, s1
	v_lshrrev_b64 v[8:9], 31, v[8:9]
	v_mov_b64_e32 v[18:19], 0
	v_mov_b64_e32 v[6:7], 0
                                        ; implicit-def: $vgpr16_vgpr17
                                        ; implicit-def: $vgpr22
                                        ; implicit-def: $vgpr24_vgpr25
                                        ; implicit-def: $vgpr32_vgpr33
                                        ; implicit-def: $vgpr20_vgpr21
	s_delay_alu instid0(VALU_DEP_3)
	v_and_b32_e32 v38, 3, v8
	s_and_saveexec_b32 s0, vcc_lo
	s_cbranch_execz .LBB8_64
; %bb.55:
	s_trap 2
	ds_load_b64 v[6:7], v0
	v_and_b32_e32 v8, 0xffff, v38
	s_mov_b32 s1, exec_lo
                                        ; implicit-def: $vgpr16_vgpr17
	s_wait_dscnt 0x0
	v_readfirstlane_b32 s2, v6
	v_readfirstlane_b32 s3, v7
	flat_load_b64 v[6:7], v35, s[2:3] scale_offset
	s_wait_loadcnt_dscnt 0x0
	v_mad_nc_u64_u32 v[28:29], 0xa8, v8, v[6:7]
	flat_load_b32 v6, v[28:29] offset:640
	s_wait_loadcnt_dscnt 0x0
	v_cmpx_eq_u32_e32 1, v6
	s_cbranch_execz .LBB8_57
; %bb.56:
	flat_load_b64 v[16:17], v[28:29] offset:648
	v_or_b32_e32 v114, 0x2000, v114
	s_wait_loadcnt_dscnt 0x0
	flat_load_b64 v[6:7], v[16:17]
	s_trap 2
	s_wait_loadcnt_dscnt 0x0
	ds_store_b64 v0, v[6:7]
	flat_load_b64 v[6:7], v[16:17] offset:8
	s_wait_loadcnt_dscnt 0x0
	ds_store_b64 v0, v[6:7]
	flat_load_b64 v[6:7], v[16:17] offset:16
	s_wait_loadcnt_dscnt 0x0
	ds_store_b64 v0, v[6:7]
.LBB8_57:
	s_wait_xcnt 0x0
	s_or_b32 exec_lo, exec_lo, s1
	flat_load_b64 v[8:9], v[28:29] offset:608
	v_and_b32_e32 v6, 32, v114
	s_mov_b32 s1, exec_lo
                                        ; implicit-def: $vgpr20_vgpr21
	s_wait_xcnt 0x0
	s_delay_alu instid0(VALU_DEP_1)
	v_cmpx_ne_u32_e32 0, v6
	s_cbranch_execz .LBB8_59
; %bb.58:
	flat_load_b64 v[20:21], v[28:29] offset:560
	global_wb scope:SCOPE_SYS
	s_wait_storecnt 0x0
	s_wait_xcnt 0x0
	s_wait_loadcnt_dscnt 0x0
	flat_store_b64 v[20:21], v[8:9] scope:SCOPE_SYS
.LBB8_59:
	s_wait_xcnt 0x0
	s_or_b32 exec_lo, exec_lo, s1
	v_and_b32_e32 v22, 4, v114
	v_add_nc_u64_e32 v[18:19], 0x1f8, v[28:29]
	v_mov_b64_e32 v[6:7], 0
                                        ; implicit-def: $vgpr24_vgpr25
                                        ; implicit-def: $vgpr32_vgpr33
	s_delay_alu instid0(VALU_DEP_3)
	v_cmp_ne_u32_e32 vcc_lo, 0, v22
                                        ; implicit-def: $vgpr22
	s_and_saveexec_b32 s1, vcc_lo
	s_cbranch_execz .LBB8_63
; %bb.60:
	v_and_b32_e32 v6, 0x800, v114
	s_mov_b32 s2, exec_lo
	s_delay_alu instid0(VALU_DEP_1)
	v_cmpx_eq_u32_e32 0, v6
	s_cbranch_execz .LBB8_62
; %bb.61:
	s_trap 2
	ds_store_b64 v0, v[18:19]
.LBB8_62:
	s_or_b32 exec_lo, exec_lo, s2
	flat_load_b64 v[20:21], v[28:29] offset:552
	s_wait_loadcnt_dscnt 0x0
	flat_load_b64 v[32:33], v[20:21] scope:SCOPE_SYS
	s_clause 0x2
	flat_load_b64 v[6:7], v[28:29] offset:600
	flat_load_b32 v22, v[28:29] offset:576
	flat_load_b64 v[24:25], v[28:29] offset:520
	s_wait_xcnt 0x0
	v_or_b32_e32 v28, 0x100, v114
	s_wait_loadcnt_dscnt 0x202
	v_cmp_eq_u64_e32 vcc_lo, 0, v[6:7]
	s_delay_alu instid0(VALU_DEP_2)
	v_cndmask_b32_e32 v114, v28, v114, vcc_lo
.LBB8_63:
	s_or_b32 exec_lo, exec_lo, s1
.LBB8_64:
	s_delay_alu instid0(SALU_CYCLE_1) | instskip(NEXT) | instid1(VALU_DEP_1)
	s_or_b32 exec_lo, exec_lo, s0
	v_and_b32_e32 v28, 24, v114
	s_delay_alu instid0(VALU_DEP_1)
	v_cmp_ne_u32_e32 vcc_lo, 0, v28
                                        ; implicit-def: $vgpr28_vgpr29
	s_and_saveexec_b32 s0, vcc_lo
	s_cbranch_execz .LBB8_72
; %bb.65:
	s_trap 2
	ds_load_b64 v[6:7], v0
	s_wait_loadcnt_dscnt 0x1
	v_and_b32_e32 v8, 0xffff, v38
	v_or_b32_e32 v28, 0x100, v114
	s_wait_dscnt 0x0
	v_readfirstlane_b32 s2, v6
	v_readfirstlane_b32 s3, v7
	flat_load_b64 v[6:7], v35, s[2:3] scale_offset
	s_wait_loadcnt_dscnt 0x0
	v_mad_nc_u64_u32 v[18:19], 0xa8, v8, v[6:7]
	flat_load_b128 v[6:9], v[18:19] offset:96
	s_wait_loadcnt_dscnt 0x0
	v_cmp_eq_u64_e32 vcc_lo, 0, v[6:7]
	v_cndmask_b32_e32 v114, v28, v114, vcc_lo
	s_delay_alu instid0(VALU_DEP_1) | instskip(NEXT) | instid1(VALU_DEP_1)
	v_and_b32_e32 v28, 16, v114
	v_cmp_ne_u32_e32 vcc_lo, 0, v28
                                        ; implicit-def: $vgpr28_vgpr29
	s_wait_xcnt 0x0
	s_and_saveexec_b32 s1, vcc_lo
	s_cbranch_execz .LBB8_67
; %bb.66:
	s_clause 0x2
	flat_load_b64 v[20:21], v[18:19] offset:48
	flat_load_b64 v[28:29], v[18:19] offset:120
	;; [unrolled: 1-line block ×3, first 2 shown]
.LBB8_67:
	s_wait_xcnt 0x0
	s_or_b32 exec_lo, exec_lo, s1
	v_and_b32_e32 v35, 8, v114
	s_mov_b32 s1, exec_lo
	s_delay_alu instid0(VALU_DEP_1)
	v_cmpx_ne_u32_e32 0, v35
	s_cbranch_execz .LBB8_71
; %bb.68:
	s_wait_loadcnt_dscnt 0x202
	v_and_b32_e32 v20, 0x800, v114
	s_mov_b32 s2, exec_lo
	s_delay_alu instid0(VALU_DEP_1)
	v_cmpx_eq_u32_e32 0, v20
	s_cbranch_execz .LBB8_70
; %bb.69:
	s_trap 2
	ds_store_b64 v0, v[18:19]
.LBB8_70:
	s_or_b32 exec_lo, exec_lo, s2
	flat_load_b64 v[20:21], v[18:19] offset:56
	s_wait_loadcnt_dscnt 0x0
	flat_load_b64 v[32:33], v[20:21] scope:SCOPE_SYS
	s_clause 0x1
	flat_load_b32 v22, v[18:19] offset:72
	flat_load_b64 v[24:25], v[18:19] offset:16
.LBB8_71:
	s_wait_xcnt 0x0
	s_or_b32 exec_lo, exec_lo, s1
.LBB8_72:
	s_delay_alu instid0(SALU_CYCLE_1)
	s_or_b32 exec_lo, exec_lo, s0
	v_cmp_eq_u32_e64 s0, 0, v0
	s_and_saveexec_b32 s1, s0
	s_cbranch_execz .LBB8_74
; %bb.73:
	flat_load_b64 v[38:39], v[2:3] offset:32
	s_wait_loadcnt 0x3
	v_dual_mov_b32 v48, v12 :: v_dual_mov_b32 v49, v13
	v_dual_mov_b32 v50, v10 :: v_dual_mov_b32 v51, v11
	ds_store_2addr_b64 v0, v[48:49], v[50:51] offset1:1
	s_trap 2
	s_wait_loadcnt_dscnt 0x1
	ds_store_b64 v0, v[38:39]
	ds_store_b64 v0, v[26:27]
.LBB8_74:
	s_wait_xcnt 0x0
	s_or_b32 exec_lo, exec_lo, s1
	s_wait_loadcnt 0x1
	v_mov_b64_e32 v[26:27], 0
	s_wait_loadcnt 0x0
	v_and_b32_e32 v115, 0xffff, v1
	s_mov_b32 s24, exec_lo
	s_trap 2
	v_cmpx_ne_u64_e32 0, v[4:5]
	s_cbranch_execz .LBB8_1000
; %bb.75:
	flat_load_b32 v80, v[2:3] offset:4
	v_cvt_f64_u32_e32 v[26:27], 0
	s_wait_dscnt 0x1
	v_dual_lshlrev_b32 v1, 9, v34 :: v_dual_mov_b32 v35, 0
	v_cmp_ne_u32_e64 s1, v36, v23
	s_wait_xcnt 0x0
	v_dual_lshrrev_b32 v36, 5, v30 :: v_dual_ashrrev_i32 v3, 31, v0
	s_delay_alu instid0(VALU_DEP_3)
	v_and_b32_e32 v2, 0x3ffffe00, v1
	v_cmp_ne_u64_e64 s14, v[12:13], v[10:11]
	v_cmp_ne_u32_e64 s2, v37, v23
	v_and_b32_e32 v1, 0x1fe0, v30
	v_dual_mov_b32 v3, v35 :: v_dual_lshrrev_b32 v10, 27, v3
	v_cvt_f64_u32_e32 v[48:49], v2
	v_dual_mov_b32 v37, v35 :: v_dual_lshlrev_b32 v52, 9, v36
	s_delay_alu instid0(VALU_DEP_3) | instskip(SKIP_2) | instid1(VALU_DEP_3)
	v_dual_mov_b32 v53, v35 :: v_dual_add_nc_u32 v10, v0, v10
	v_subrev_nc_u32_e32 v54, 32, v1
	s_ashr_i32 s11, s10, 31
	v_dual_mov_b32 v65, v35 :: v_dual_add_nc_u32 v66, 0xfffffe00, v52
	s_delay_alu instid0(VALU_DEP_3) | instskip(SKIP_2) | instid1(VALU_DEP_3)
	v_and_b32_e32 v11, 0xffffffe0, v10
	v_lshlrev_b32_e32 v64, 11, v36
	s_xor_b32 s15, s7, -1
	v_ashrrev_i32_e32 v67, 31, v66
	s_lshr_b32 s7, s11, 24
	v_dual_sub_nc_u32 v119, v0, v11 :: v_dual_ashrrev_i32 v23, 31, v22
	v_and_b32_e32 v34, 31, v31
	s_add_co_i32 s10, s10, s7
	v_cmp_eq_u32_e32 vcc_lo, 32, v30
	v_cmp_eq_u64_e64 s5, 0, v[28:29]
	v_ldexp_f64 v[50:51], v[26:27], 32
	v_cmp_ne_u64_e64 s6, 0, v[28:29]
	v_mov_b64_e32 v[38:39], 0
	v_mov_b64_e32 v[26:27], 0
	s_ashr_i32 s26, s10, 8
	v_cmp_lt_i32_e64 s10, v119, v69
	v_cmp_le_i32_e64 s11, v119, v69
	v_cmp_ne_u32_e64 s3, 32, v30
	v_cmp_ne_u32_e64 s4, v30, v115
	v_dual_mov_b32 v116, 1 :: v_dual_mov_b32 v117, 0x88
	v_cmp_eq_u32_e64 s7, 0, v34
	v_cmp_gt_i32_e64 s13, 1, v119
	s_mov_b32 s25, 0
	s_and_b32 s27, s15, s14
	s_xor_b32 s29, vcc_lo, -1
	s_trap 2
	v_ashrrev_i32_e32 v118, 5, v10
	s_delay_alu instid0(VALU_DEP_1) | instskip(SKIP_3) | instid1(VALU_DEP_3)
	v_dual_add_f64 v[48:49], v[50:51], v[48:49] :: v_dual_lshlrev_b32 v10, 10, v118
	v_dual_mov_b32 v51, v35 :: v_dual_lshlrev_b32 v50, 10, v36
	s_wait_loadcnt_dscnt 0x0
	v_and_b32_e32 v11, 1, v80
	v_lshl_add_u32 v68, v119, 4, v10
	v_ashrrev_i32_e32 v55, 31, v54
	v_add_nc_u64_e32 v[80:81], 0x200, v[66:67]
	s_delay_alu instid0(VALU_DEP_4) | instskip(NEXT) | instid1(VALU_DEP_4)
	v_cmp_eq_u32_e64 s12, 1, v11
	v_dual_add_nc_u32 v82, v68, v10 :: v_dual_ashrrev_i32 v69, 31, v68
	s_delay_alu instid0(VALU_DEP_4) | instskip(SKIP_1) | instid1(VALU_DEP_2)
	v_add_nc_u64_e32 v[70:71], 32, v[54:55]
	s_xor_b32 s28, s12, -1
	v_ashrrev_i32_e32 v83, 31, v82
	s_branch .LBB8_77
.LBB8_76:                               ;   in Loop: Header=BB8_77 Depth=1
	s_wait_xcnt 0x0
	s_or_b32 exec_lo, exec_lo, s14
	v_add_nc_u64_e32 v[38:39], v[38:39], v[2:3]
	s_delay_alu instid0(VALU_DEP_1) | instskip(SKIP_1) | instid1(SALU_CYCLE_1)
	v_cmp_ge_u64_e32 vcc_lo, v[38:39], v[4:5]
	s_or_b32 s25, vcc_lo, s25
	s_and_not1_b32 exec_lo, exec_lo, s25
	s_cbranch_execz .LBB8_999
.LBB8_77:                               ; =>This Loop Header: Depth=1
                                        ;     Child Loop BB8_96 Depth 2
                                        ;     Child Loop BB8_131 Depth 2
	;; [unrolled: 1-line block ×5, first 2 shown]
                                        ;       Child Loop BB8_220 Depth 3
                                        ;     Child Loop BB8_230 Depth 2
                                        ;     Child Loop BB8_235 Depth 2
                                        ;       Child Loop BB8_236 Depth 3
                                        ;     Child Loop BB8_247 Depth 2
                                        ;     Child Loop BB8_252 Depth 2
                                        ;     Child Loop BB8_261 Depth 2
                                        ;     Child Loop BB8_266 Depth 2
                                        ;     Child Loop BB8_281 Depth 2
                                        ;     Child Loop BB8_388 Depth 2
                                        ;     Child Loop BB8_430 Depth 2
                                        ;     Child Loop BB8_462 Depth 2
                                        ;     Child Loop BB8_532 Depth 2
                                        ;     Child Loop BB8_576 Depth 2
                                        ;     Child Loop BB8_600 Depth 2
                                        ;     Child Loop BB8_668 Depth 2
                                        ;     Child Loop BB8_707 Depth 2
                                        ;     Child Loop BB8_712 Depth 2
                                        ;     Child Loop BB8_721 Depth 2
                                        ;     Child Loop BB8_726 Depth 2
                                        ;     Child Loop BB8_740 Depth 2
                                        ;     Child Loop BB8_812 Depth 2
                                        ;     Child Loop BB8_852 Depth 2
                                        ;     Child Loop BB8_864 Depth 2
                                        ;     Child Loop BB8_958 Depth 2
                                        ;     Child Loop BB8_103 Depth 2
                                        ;     Child Loop BB8_155 Depth 2
                                        ;     Child Loop BB8_193 Depth 2
                                        ;     Child Loop BB8_302 Depth 2
                                        ;     Child Loop BB8_307 Depth 2
                                        ;       Child Loop BB8_308 Depth 3
                                        ;     Child Loop BB8_318 Depth 2
                                        ;     Child Loop BB8_323 Depth 2
                                        ;       Child Loop BB8_324 Depth 3
                                        ;     Child Loop BB8_335 Depth 2
                                        ;     Child Loop BB8_340 Depth 2
	;; [unrolled: 1-line block ×21, first 2 shown]
	v_sub_nc_u64_e32 v[10:11], v[4:5], v[38:39]
	v_max_num_f64_e32 v[84:85], v[48:49], v[48:49]
	s_mov_b32 s40, 0
	s_delay_alu instid0(VALU_DEP_2) | instskip(NEXT) | instid1(VALU_DEP_3)
	v_cvt_f64_u32_e32 v[12:13], v11
	v_cvt_f64_u32_e32 v[10:11], v10
	s_delay_alu instid0(VALU_DEP_2) | instskip(NEXT) | instid1(VALU_DEP_1)
	v_ldexp_f64 v[12:13], v[12:13], 32
	v_add_f64_e32 v[10:11], v[12:13], v[10:11]
	s_delay_alu instid0(VALU_DEP_1) | instskip(NEXT) | instid1(VALU_DEP_1)
	v_min_num_f64_e32 v[10:11], v[84:85], v[10:11]
	v_cvt_i32_f64_e32 v12, v[10:11]
	s_delay_alu instid0(VALU_DEP_1) | instskip(SKIP_2) | instid1(VALU_DEP_3)
	v_max_i32_e32 v40, 0, v12
	v_cmp_gt_i32_e64 s14, 1, v12
	v_cmp_lt_i32_e64 s15, 0, v12
	v_add_nc_u32_e32 v10, 15, v40
	s_delay_alu instid0(VALU_DEP_1) | instskip(NEXT) | instid1(VALU_DEP_1)
	v_ashrrev_i32_e32 v11, 31, v10
	v_lshrrev_b32_e32 v11, 28, v11
	s_delay_alu instid0(VALU_DEP_1) | instskip(NEXT) | instid1(VALU_DEP_1)
	v_add_nc_u32_e32 v10, v10, v11
	v_and_b32_e32 v13, -16, v10
	v_add_nc_u64_e32 v[10:11], v[38:39], v[14:15]
	s_delay_alu instid0(VALU_DEP_2) | instskip(SKIP_1) | instid1(SALU_CYCLE_1)
	v_max_i32_e32 v84, s26, v13
	s_and_saveexec_b32 s16, s1
	s_xor_b32 s41, exec_lo, s16
	s_cbranch_execz .LBB8_85
; %bb.78:                               ;   in Loop: Header=BB8_77 Depth=1
	s_mov_b32 s17, 0
	s_and_saveexec_b32 s16, s2
	s_delay_alu instid0(SALU_CYCLE_1)
	s_xor_b32 s40, exec_lo, s16
	s_cbranch_execz .LBB8_566
; %bb.79:                               ;   in Loop: Header=BB8_77 Depth=1
	v_mov_b32_e32 v12, 0
	s_and_saveexec_b32 s42, s15
	s_cbranch_execz .LBB8_423
; %bb.80:                               ;   in Loop: Header=BB8_77 Depth=1
	s_and_saveexec_b32 s16, s0
	s_cbranch_execz .LBB8_82
; %bb.81:                               ;   in Loop: Header=BB8_77 Depth=1
	s_trap 2
	ds_load_b128 v[96:99], v0
	s_wait_dscnt 0x0
	v_add_nc_u64_e32 v[12:13], v[98:99], v[10:11]
	v_cmp_ne_u64_e32 vcc_lo, 0, v[98:99]
	v_add_nc_u64_e32 v[10:11], v[96:97], v[10:11]
	s_delay_alu instid0(VALU_DEP_3)
	v_dual_cndmask_b32 v13, 0, v13 :: v_dual_cndmask_b32 v12, 0, v12
	ds_store_b64 v0, v[10:11]
	ds_store_b64 v0, v[12:13]
.LBB8_82:                               ;   in Loop: Header=BB8_77 Depth=1
	s_or_b32 exec_lo, exec_lo, s16
	v_and_b32_e32 v10, 12, v114
	v_min_i32_e32 v84, v84, v40
	s_mov_b32 s17, exec_lo
	s_delay_alu instid0(VALU_DEP_2)
	v_cmpx_ne_u32_e32 0, v10
	s_cbranch_execz .LBB8_123
; %bb.83:                               ;   in Loop: Header=BB8_77 Depth=1
	v_and_b32_e32 v34, 8, v114
	v_add_nc_u64_e32 v[10:11], 1, v[8:9]
	s_mov_b32 s18, exec_lo
	s_wait_loadcnt_dscnt 0x1
	s_delay_alu instid0(VALU_DEP_2) | instskip(NEXT) | instid1(VALU_DEP_1)
	v_add_nc_u64_e32 v[12:13], v[32:33], v[34:35]
	v_cmpx_lt_u64_e64 v[12:13], v[10:11]
	s_cbranch_execz .LBB8_110
; %bb.84:                               ;   in Loop: Header=BB8_77 Depth=1
	v_and_b32_e32 v9, 64, v114
	s_mov_b32 s19, 0
	s_mov_b32 s44, 0
                                        ; implicit-def: $sgpr20
                                        ; implicit-def: $sgpr21
                                        ; implicit-def: $sgpr43
	s_delay_alu instid0(VALU_DEP_1)
	v_cmp_eq_u32_e32 vcc_lo, 0, v9
	s_branch .LBB8_96
.LBB8_85:                               ;   in Loop: Header=BB8_77 Depth=1
	s_and_not1_saveexec_b32 s41, s41
	s_cbranch_execz .LBB8_997
.LBB8_86:                               ;   in Loop: Header=BB8_77 Depth=1
	s_mov_b32 s17, 0
	s_mov_b32 s16, s40
	s_and_saveexec_b32 s18, s27
	s_delay_alu instid0(SALU_CYCLE_1)
	s_xor_b32 s42, exec_lo, s18
	s_cbranch_execz .LBB8_615
; %bb.87:                               ;   in Loop: Header=BB8_77 Depth=1
	v_mov_b32_e32 v12, 0
	s_and_saveexec_b32 s43, s15
	s_cbranch_execz .LBB8_478
; %bb.88:                               ;   in Loop: Header=BB8_77 Depth=1
	s_and_saveexec_b32 s16, s0
	s_cbranch_execz .LBB8_90
; %bb.89:                               ;   in Loop: Header=BB8_77 Depth=1
	s_trap 2
	ds_load_b64 v[12:13], v0
	ds_load_2addr_b64 v[96:99], v0 offset1:1
	s_wait_dscnt 0x1
	v_add_nc_u64_e32 v[86:87], v[12:13], v[10:11]
	v_cmp_ne_u64_e32 vcc_lo, 0, v[12:13]
	s_wait_dscnt 0x0
	v_add_nc_u64_e32 v[12:13], v[96:97], v[10:11]
	v_add_nc_u64_e32 v[10:11], v[98:99], v[10:11]
	s_delay_alu instid0(VALU_DEP_4)
	v_dual_cndmask_b32 v87, 0, v87 :: v_dual_cndmask_b32 v86, 0, v86
	ds_store_b64 v0, v[12:13]
	ds_store_b64 v0, v[10:11]
	;; [unrolled: 1-line block ×3, first 2 shown]
.LBB8_90:                               ;   in Loop: Header=BB8_77 Depth=1
	s_or_b32 exec_lo, exec_lo, s16
	v_and_b32_e32 v10, 8, v114
	v_min_i32_e32 v84, v84, v40
	s_mov_b32 s17, exec_lo
	s_delay_alu instid0(VALU_DEP_2)
	v_cmpx_ne_u32_e32 0, v10
	s_cbranch_execz .LBB8_147
; %bb.91:                               ;   in Loop: Header=BB8_77 Depth=1
	s_wait_loadcnt_dscnt 0x1
	v_add_nc_u64_e32 v[12:13], 8, v[32:33]
	v_add_nc_u64_e32 v[10:11], 1, v[8:9]
	s_mov_b32 s18, exec_lo
	s_delay_alu instid0(VALU_DEP_1)
	v_cmpx_lt_u64_e64 v[12:13], v[10:11]
	s_cbranch_execz .LBB8_138
; %bb.92:                               ;   in Loop: Header=BB8_77 Depth=1
	v_and_b32_e32 v9, 64, v114
	s_mov_b32 s19, 0
	s_mov_b32 s45, 0
                                        ; implicit-def: $sgpr20
                                        ; implicit-def: $sgpr21
                                        ; implicit-def: $sgpr44
	s_delay_alu instid0(VALU_DEP_1)
	v_cmp_eq_u32_e32 vcc_lo, 0, v9
	s_branch .LBB8_103
.LBB8_93:                               ;   in Loop: Header=BB8_96 Depth=2
	s_wait_loadcnt_dscnt 0x0
	v_add_nc_u64_e32 v[12:13], v[32:33], v[34:35]
	s_or_b32 s47, s47, exec_lo
	s_delay_alu instid0(VALU_DEP_1)
	v_cmp_ge_u64_e64 s16, v[12:13], v[10:11]
	s_or_not1_b32 s46, s16, exec_lo
.LBB8_94:                               ;   in Loop: Header=BB8_96 Depth=2
	s_or_b32 exec_lo, exec_lo, s57
	s_delay_alu instid0(SALU_CYCLE_1)
	s_and_not1_b32 s16, s43, exec_lo
	s_and_b32 s43, s47, exec_lo
	s_and_not1_b32 s21, s21, exec_lo
	s_and_b32 s46, s46, exec_lo
	s_or_b32 s43, s16, s43
	s_or_b32 s21, s21, s46
.LBB8_95:                               ;   in Loop: Header=BB8_96 Depth=2
	s_or_b32 exec_lo, exec_lo, s45
	s_delay_alu instid0(SALU_CYCLE_1) | instskip(NEXT) | instid1(SALU_CYCLE_1)
	s_and_b32 s16, exec_lo, s21
	s_or_b32 s19, s16, s19
	s_and_not1_b32 s16, s20, exec_lo
	s_and_b32 s20, s43, exec_lo
	s_delay_alu instid0(SALU_CYCLE_1)
	s_or_b32 s20, s16, s20
	s_and_not1_b32 exec_lo, exec_lo, s19
	s_cbranch_execz .LBB8_107
.LBB8_96:                               ;   Parent Loop BB8_77 Depth=1
                                        ; =>  This Inner Loop Header: Depth=2
	s_sleep 1
	s_wait_loadcnt_dscnt 0x0
	flat_load_b64 v[32:33], v[20:21] scope:SCOPE_SYS
	s_or_b32 s43, s43, exec_lo
	s_or_b32 s21, s21, exec_lo
                                        ; implicit-def: $vgpr9
	s_wait_xcnt 0x0
	s_and_saveexec_b32 s45, vcc_lo
	s_cbranch_execz .LBB8_95
; %bb.97:                               ;   in Loop: Header=BB8_96 Depth=2
	s_cmp_lt_i32 s44, 0x270f
	s_mov_b32 s46, -1
	s_cselect_b32 s56, -1, 0
	s_cmp_gt_i32 s44, 0x270e
	s_cbranch_scc0 .LBB8_99
; %bb.98:                               ;   in Loop: Header=BB8_96 Depth=2
	s_trap 2
	ds_load_b64 v[12:13], v0
	s_and_not1_b32 s44, s56, exec_lo
	s_mov_b32 s47, 0
	s_wait_storecnt 0x0
	s_wait_loadcnt_dscnt 0x0
	flat_load_b32 v9, v[12:13] scope:SCOPE_SYS
	s_wait_loadcnt_dscnt 0x0
	global_inv scope:SCOPE_SYS
	v_cmp_eq_u32_e64 s16, 0, v9
	s_and_b32 s16, s16, exec_lo
	s_delay_alu instid0(SALU_CYCLE_1)
	s_or_b32 s56, s44, s16
	s_mov_b32 s44, 0
	s_and_saveexec_b32 s57, s56
	s_cbranch_execz .LBB8_94
	s_branch .LBB8_93
.LBB8_99:                               ;   in Loop: Header=BB8_96 Depth=2
	s_add_co_i32 s44, s44, 1
	s_mov_b32 s47, -1
                                        ; implicit-def: $vgpr9
	s_and_saveexec_b32 s57, s56
	s_cbranch_execz .LBB8_94
	s_branch .LBB8_93
.LBB8_100:                              ;   in Loop: Header=BB8_103 Depth=2
	s_wait_loadcnt_dscnt 0x0
	v_add_nc_u64_e32 v[12:13], 8, v[32:33]
	s_or_b32 s56, s56, exec_lo
	s_delay_alu instid0(VALU_DEP_1)
	v_cmp_ge_u64_e64 s16, v[12:13], v[10:11]
	s_or_not1_b32 s47, s16, exec_lo
.LBB8_101:                              ;   in Loop: Header=BB8_103 Depth=2
	s_or_b32 exec_lo, exec_lo, s58
	s_delay_alu instid0(SALU_CYCLE_1)
	s_and_not1_b32 s16, s44, exec_lo
	s_and_b32 s44, s56, exec_lo
	s_and_not1_b32 s21, s21, exec_lo
	s_and_b32 s47, s47, exec_lo
	s_or_b32 s44, s16, s44
	s_or_b32 s21, s21, s47
.LBB8_102:                              ;   in Loop: Header=BB8_103 Depth=2
	s_or_b32 exec_lo, exec_lo, s46
	s_delay_alu instid0(SALU_CYCLE_1) | instskip(NEXT) | instid1(SALU_CYCLE_1)
	s_and_b32 s16, exec_lo, s21
	s_or_b32 s19, s16, s19
	s_and_not1_b32 s16, s20, exec_lo
	s_and_b32 s20, s44, exec_lo
	s_delay_alu instid0(SALU_CYCLE_1)
	s_or_b32 s20, s16, s20
	s_and_not1_b32 exec_lo, exec_lo, s19
	s_cbranch_execz .LBB8_135
.LBB8_103:                              ;   Parent Loop BB8_77 Depth=1
                                        ; =>  This Inner Loop Header: Depth=2
	s_sleep 1
	s_wait_loadcnt_dscnt 0x0
	flat_load_b64 v[32:33], v[20:21] scope:SCOPE_SYS
	s_or_b32 s44, s44, exec_lo
	s_or_b32 s21, s21, exec_lo
                                        ; implicit-def: $vgpr9
	s_wait_xcnt 0x0
	s_and_saveexec_b32 s46, vcc_lo
	s_cbranch_execz .LBB8_102
; %bb.104:                              ;   in Loop: Header=BB8_103 Depth=2
	s_cmp_lt_i32 s45, 0x270f
	s_mov_b32 s47, -1
	s_cselect_b32 s57, -1, 0
	s_cmp_gt_i32 s45, 0x270e
	s_cbranch_scc0 .LBB8_106
; %bb.105:                              ;   in Loop: Header=BB8_103 Depth=2
	s_trap 2
	ds_load_b64 v[12:13], v0
	s_and_not1_b32 s45, s57, exec_lo
	s_mov_b32 s56, 0
	s_wait_storecnt 0x0
	s_wait_loadcnt_dscnt 0x0
	flat_load_b32 v9, v[12:13] scope:SCOPE_SYS
	s_wait_loadcnt_dscnt 0x0
	global_inv scope:SCOPE_SYS
	v_cmp_eq_u32_e64 s16, 0, v9
	s_and_b32 s16, s16, exec_lo
	s_delay_alu instid0(SALU_CYCLE_1)
	s_or_b32 s57, s45, s16
	s_mov_b32 s45, 0
	s_and_saveexec_b32 s58, s57
	s_cbranch_execz .LBB8_101
	s_branch .LBB8_100
.LBB8_106:                              ;   in Loop: Header=BB8_103 Depth=2
	s_add_co_i32 s45, s45, 1
	s_mov_b32 s56, -1
                                        ; implicit-def: $vgpr9
	s_and_saveexec_b32 s58, s57
	s_cbranch_execz .LBB8_101
	s_branch .LBB8_100
.LBB8_107:                              ;   in Loop: Header=BB8_77 Depth=1
	s_or_b32 exec_lo, exec_lo, s19
	s_xor_b32 s16, s20, -1
	s_delay_alu instid0(SALU_CYCLE_1) | instskip(NEXT) | instid1(SALU_CYCLE_1)
	s_and_saveexec_b32 s19, s16
	s_xor_b32 s16, exec_lo, s19
	s_cbranch_execz .LBB8_109
; %bb.108:                              ;   in Loop: Header=BB8_77 Depth=1
	v_or_b32_e32 v114, 64, v114
	s_wait_storecnt 0x0
	s_wait_loadcnt_dscnt 0x0
	ds_store_b32 v0, v9
	s_trap 2
.LBB8_109:                              ;   in Loop: Header=BB8_77 Depth=1
	s_or_b32 exec_lo, exec_lo, s16
.LBB8_110:                              ;   in Loop: Header=BB8_77 Depth=1
	s_delay_alu instid0(SALU_CYCLE_1) | instskip(SKIP_3) | instid1(VALU_DEP_1)
	s_or_b32 exec_lo, exec_lo, s18
	v_and_b32_e32 v9, 0x108, v114
	s_mov_b32 s16, exec_lo
	;;#ASMSTART
	s_wakeup
	;;#ASMEND
                                        ; implicit-def: $vgpr12_vgpr13
	v_cmpx_ne_u32_e32 0x108, v9
	s_xor_b32 s16, exec_lo, s16
; %bb.111:                              ;   in Loop: Header=BB8_77 Depth=1
	v_dual_mov_b32 v13, v35 :: v_dual_bitop2_b32 v12, 7, v8 bitop3:0x40
; %bb.112:                              ;   in Loop: Header=BB8_77 Depth=1
	s_and_not1_saveexec_b32 s16, s16
	s_cbranch_execz .LBB8_114
; %bb.113:                              ;   in Loop: Header=BB8_77 Depth=1
	v_dual_mov_b32 v13, v35 :: v_dual_bitop2_b32 v12, 7, v8 bitop3:0x40
	v_ashrrev_i32_e32 v85, 31, v84
	s_delay_alu instid0(VALU_DEP_2)
	v_mad_nc_u64_u32 v[8:9], v12, 24, v[6:7]
	flat_store_b64 v[8:9], v[84:85] offset:8
.LBB8_114:                              ;   in Loop: Header=BB8_77 Depth=1
	s_wait_xcnt 0x0
	s_or_b32 exec_lo, exec_lo, s16
	v_and_b32_e32 v8, 0x100, v114
	s_mov_b32 s16, -1
	s_delay_alu instid0(VALU_DEP_1)
	v_cmp_ne_u32_e32 vcc_lo, 0, v8
                                        ; implicit-def: $vgpr8_vgpr9
	s_and_saveexec_b32 s18, vcc_lo
	s_cbranch_execz .LBB8_118
; %bb.115:                              ;   in Loop: Header=BB8_77 Depth=1
	v_mad_nc_u64_u32 v[86:87], v12, 24, v[6:7]
	s_delay_alu instid0(VALU_DEP_1)
	v_mad_u32 v87, v13, 24, v87
	flat_load_b32 v8, v[86:87]
	s_wait_loadcnt_dscnt 0x0
	v_cmp_eq_u32_e64 s16, 1, v8
	v_cmp_ne_u32_e32 vcc_lo, 1, v8
                                        ; implicit-def: $vgpr8_vgpr9
	s_wait_xcnt 0x0
	s_and_saveexec_b32 s19, s16
	s_cbranch_execz .LBB8_117
; %bb.116:                              ;   in Loop: Header=BB8_77 Depth=1
	flat_load_b32 v8, v[86:87] offset:4 scope:SCOPE_SYS
	s_wait_loadcnt_dscnt 0x0
	v_ashrrev_i32_e32 v9, 31, v8
.LBB8_117:                              ;   in Loop: Header=BB8_77 Depth=1
	s_wait_xcnt 0x0
	s_or_b32 exec_lo, exec_lo, s19
	s_delay_alu instid0(SALU_CYCLE_1)
	s_or_not1_b32 s16, vcc_lo, exec_lo
.LBB8_118:                              ;   in Loop: Header=BB8_77 Depth=1
	s_or_b32 exec_lo, exec_lo, s18
	s_and_saveexec_b32 s18, s16
; %bb.119:                              ;   in Loop: Header=BB8_77 Depth=1
	v_mul_u64_e32 v[8:9], v[12:13], v[22:23]
; %bb.120:                              ;   in Loop: Header=BB8_77 Depth=1
	s_or_b32 exec_lo, exec_lo, s18
	v_cmp_eq_u32_e32 vcc_lo, 0, v34
	s_delay_alu instid0(VALU_DEP_2) | instskip(SKIP_3) | instid1(VALU_DEP_1)
	v_add_nc_u64_e32 v[8:9], v[24:25], v[8:9]
	v_and_b32_e32 v13, 0x2000, v114
	s_mov_b32 s16, exec_lo
	v_cndmask_b32_e32 v12, 0xd0, v117, vcc_lo
	v_add_nc_u32_e32 v12, v0, v12
	ds_store_b64 v12, v[8:9] offset:584
	v_cmpx_ne_u32_e32 0, v13
	s_cbranch_execz .LBB8_122
; %bb.121:                              ;   in Loop: Header=BB8_77 Depth=1
	ds_load_b64 v[8:9], v0 offset:872
	s_wait_dscnt 0x0
	v_add_nc_u64_e32 v[8:9], 1, v[8:9]
	ds_store_b64 v0, v[8:9] offset:872
.LBB8_122:                              ;   in Loop: Header=BB8_77 Depth=1
	s_or_b32 exec_lo, exec_lo, s16
	v_mov_b64_e32 v[8:9], v[10:11]
.LBB8_123:                              ;   in Loop: Header=BB8_77 Depth=1
	s_or_b32 exec_lo, exec_lo, s17
	s_and_saveexec_b32 s16, s3
	s_cbranch_execz .LBB8_166
; %bb.124:                              ;   in Loop: Header=BB8_77 Depth=1
	s_and_saveexec_b32 s17, s4
	s_delay_alu instid0(SALU_CYCLE_1)
	s_xor_b32 s17, exec_lo, s17
	s_cbranch_execz .LBB8_163
; %bb.125:                              ;   in Loop: Header=BB8_77 Depth=1
	s_and_saveexec_b32 s18, s7
	s_cbranch_execz .LBB8_162
; %bb.126:                              ;   in Loop: Header=BB8_77 Depth=1
	s_mov_b32 s20, exec_lo
	s_mov_b32 s19, exec_lo
	v_mbcnt_lo_u32_b32 v10, s20, 0
	global_wb scope:SCOPE_DEV
	s_wait_storecnt 0x0
	s_wait_loadcnt_dscnt 0x0
	global_inv scope:SCOPE_DEV
	v_cmpx_eq_u32_e32 0, v10
	s_cbranch_execz .LBB8_128
; %bb.127:                              ;   in Loop: Header=BB8_77 Depth=1
	s_bcnt1_i32_b32 s20, s20
	s_delay_alu instid0(SALU_CYCLE_1)
	v_mov_b32_e32 v34, s20
	s_wait_loadcnt 0x0
	ds_add_u64 v0, v[34:35]
	s_trap 2
.LBB8_128:                              ;   in Loop: Header=BB8_77 Depth=1
	s_or_b32 exec_lo, exec_lo, s19
	s_trap 2
	ds_load_b64 v[10:11], v0
	s_wait_dscnt 0x0
	v_add_nc_u64_e32 v[26:27], v[26:27], v[36:37]
	s_mov_b32 s19, exec_lo
	s_delay_alu instid0(VALU_DEP_1)
	v_cmpx_lt_u64_e64 v[10:11], v[26:27]
	s_cbranch_execz .LBB8_161
; %bb.129:                              ;   in Loop: Header=BB8_77 Depth=1
	s_mov_b32 s20, 0
	s_mov_b32 s44, 0
                                        ; implicit-def: $sgpr21
                                        ; implicit-def: $sgpr43
	s_branch .LBB8_131
.LBB8_130:                              ;   in Loop: Header=BB8_131 Depth=2
	s_or_b32 exec_lo, exec_lo, s46
	s_delay_alu instid0(SALU_CYCLE_1) | instskip(NEXT) | instid1(SALU_CYCLE_1)
	s_and_b32 s45, exec_lo, s47
	s_or_b32 s20, s45, s20
	s_and_not1_b32 s21, s21, exec_lo
	s_and_b32 s45, s43, exec_lo
	s_delay_alu instid0(SALU_CYCLE_1)
	s_or_b32 s21, s21, s45
	s_and_not1_b32 exec_lo, exec_lo, s20
	s_cbranch_execz .LBB8_159
.LBB8_131:                              ;   Parent Loop BB8_77 Depth=1
                                        ; =>  This Inner Loop Header: Depth=2
	s_add_co_i32 s44, s44, 1
	s_delay_alu instid0(SALU_CYCLE_1) | instskip(SKIP_1) | instid1(SALU_CYCLE_1)
	s_cmp_lg_u32 s44, 0x2710
	s_cselect_b32 s45, -1, 0
	s_and_b32 vcc_lo, exec_lo, s45
	s_cbranch_vccz .LBB8_133
; %bb.132:                              ;   in Loop: Header=BB8_131 Depth=2
	s_mov_b32 s47, -1
	s_or_b32 s43, s43, exec_lo
	s_and_saveexec_b32 s46, s45
	s_cbranch_execz .LBB8_130
	s_branch .LBB8_134
.LBB8_133:                              ;   in Loop: Header=BB8_131 Depth=2
	s_trap 2
	ds_load_b64 v[10:11], v0
	s_and_not1_b32 s45, s45, exec_lo
	s_mov_b32 s44, 0
	s_wait_loadcnt_dscnt 0x0
	flat_load_b32 v10, v[10:11] scope:SCOPE_SYS
	s_wait_loadcnt_dscnt 0x0
	global_inv scope:SCOPE_SYS
	v_cmp_eq_u32_e32 vcc_lo, 0, v10
	s_and_b32 s46, vcc_lo, exec_lo
	s_delay_alu instid0(SALU_CYCLE_1)
	s_or_b32 s45, s45, s46
	s_mov_b32 s47, -1
	s_or_b32 s43, s43, exec_lo
	s_and_saveexec_b32 s46, s45
	s_cbranch_execz .LBB8_130
.LBB8_134:                              ;   in Loop: Header=BB8_131 Depth=2
	s_sleep 1
	s_trap 2
	ds_load_b64 v[10:11], v0
	s_wait_dscnt 0x0
	s_and_not1_b32 s43, s43, exec_lo
	v_cmp_ge_u64_e32 vcc_lo, v[10:11], v[26:27]
	s_or_not1_b32 s47, vcc_lo, exec_lo
	s_branch .LBB8_130
.LBB8_135:                              ;   in Loop: Header=BB8_77 Depth=1
	s_or_b32 exec_lo, exec_lo, s19
	s_xor_b32 s16, s20, -1
	s_delay_alu instid0(SALU_CYCLE_1) | instskip(NEXT) | instid1(SALU_CYCLE_1)
	s_and_saveexec_b32 s19, s16
	s_xor_b32 s16, exec_lo, s19
	s_cbranch_execz .LBB8_137
; %bb.136:                              ;   in Loop: Header=BB8_77 Depth=1
	v_or_b32_e32 v114, 64, v114
	s_wait_storecnt 0x0
	s_wait_loadcnt_dscnt 0x0
	ds_store_b32 v0, v9
	s_trap 2
.LBB8_137:                              ;   in Loop: Header=BB8_77 Depth=1
	s_or_b32 exec_lo, exec_lo, s16
.LBB8_138:                              ;   in Loop: Header=BB8_77 Depth=1
	s_delay_alu instid0(SALU_CYCLE_1) | instskip(SKIP_4) | instid1(VALU_DEP_2)
	s_or_b32 exec_lo, exec_lo, s18
	v_and_b32_e32 v9, 0x100, v114
	v_and_b32_e32 v34, 7, v8
	s_mov_b32 s16, -1
	;;#ASMSTART
	s_wakeup
	;;#ASMEND
	v_cmp_ne_u32_e32 vcc_lo, 0, v9
                                        ; implicit-def: $vgpr8_vgpr9
	s_and_saveexec_b32 s18, vcc_lo
	s_cbranch_execz .LBB8_142
; %bb.139:                              ;   in Loop: Header=BB8_77 Depth=1
	v_mad_nc_u64_u32 v[12:13], v34, 24, v[6:7]
	v_ashrrev_i32_e32 v85, 31, v84
	s_clause 0x1
	flat_load_b32 v8, v[12:13]
	flat_store_b64 v[12:13], v[84:85] offset:8
	s_wait_loadcnt_dscnt 0x1
	v_cmp_eq_u32_e64 s16, 1, v8
	v_cmp_ne_u32_e32 vcc_lo, 1, v8
                                        ; implicit-def: $vgpr8_vgpr9
	s_wait_xcnt 0x0
	s_and_saveexec_b32 s19, s16
	s_cbranch_execz .LBB8_141
; %bb.140:                              ;   in Loop: Header=BB8_77 Depth=1
	flat_load_b32 v8, v[12:13] offset:4 scope:SCOPE_SYS
	s_wait_loadcnt_dscnt 0x0
	v_ashrrev_i32_e32 v9, 31, v8
.LBB8_141:                              ;   in Loop: Header=BB8_77 Depth=1
	s_wait_xcnt 0x0
	s_or_b32 exec_lo, exec_lo, s19
	s_delay_alu instid0(SALU_CYCLE_1)
	s_or_not1_b32 s16, vcc_lo, exec_lo
.LBB8_142:                              ;   in Loop: Header=BB8_77 Depth=1
	s_or_b32 exec_lo, exec_lo, s18
	s_and_saveexec_b32 s18, s16
; %bb.143:                              ;   in Loop: Header=BB8_77 Depth=1
	v_mul_u64_e32 v[8:9], v[34:35], v[22:23]
; %bb.144:                              ;   in Loop: Header=BB8_77 Depth=1
	s_or_b32 exec_lo, exec_lo, s18
	s_delay_alu instid0(VALU_DEP_1)
	v_add_nc_u64_e32 v[8:9], v[24:25], v[8:9]
	v_and_b32_e32 v12, 0x2000, v114
	s_mov_b32 s16, exec_lo
	ds_store_b64 v0, v[8:9] offset:792
	v_cmpx_ne_u32_e32 0, v12
	s_cbranch_execz .LBB8_146
; %bb.145:                              ;   in Loop: Header=BB8_77 Depth=1
	ds_load_b64 v[8:9], v0 offset:872
	s_wait_dscnt 0x0
	v_add_nc_u64_e32 v[8:9], 1, v[8:9]
	ds_store_b64 v0, v[8:9] offset:872
.LBB8_146:                              ;   in Loop: Header=BB8_77 Depth=1
	s_or_b32 exec_lo, exec_lo, s16
	v_mov_b64_e32 v[8:9], v[10:11]
.LBB8_147:                              ;   in Loop: Header=BB8_77 Depth=1
	s_or_b32 exec_lo, exec_lo, s17
	s_and_saveexec_b32 s16, s3
	s_cbranch_execz .LBB8_185
; %bb.148:                              ;   in Loop: Header=BB8_77 Depth=1
	s_and_saveexec_b32 s17, s4
	s_delay_alu instid0(SALU_CYCLE_1)
	s_xor_b32 s17, exec_lo, s17
	s_cbranch_execz .LBB8_182
; %bb.149:                              ;   in Loop: Header=BB8_77 Depth=1
	s_and_saveexec_b32 s18, s7
	s_cbranch_execz .LBB8_181
; %bb.150:                              ;   in Loop: Header=BB8_77 Depth=1
	s_mov_b32 s20, exec_lo
	s_mov_b32 s19, exec_lo
	v_mbcnt_lo_u32_b32 v10, s20, 0
	global_wb scope:SCOPE_DEV
	s_wait_storecnt 0x0
	s_wait_loadcnt_dscnt 0x0
	global_inv scope:SCOPE_DEV
	v_cmpx_eq_u32_e32 0, v10
	s_cbranch_execz .LBB8_152
; %bb.151:                              ;   in Loop: Header=BB8_77 Depth=1
	s_bcnt1_i32_b32 s20, s20
	s_delay_alu instid0(SALU_CYCLE_1)
	v_mov_b32_e32 v34, s20
	s_wait_loadcnt 0x0
	ds_add_u64 v0, v[34:35]
	s_trap 2
.LBB8_152:                              ;   in Loop: Header=BB8_77 Depth=1
	s_or_b32 exec_lo, exec_lo, s19
	s_trap 2
	ds_load_b64 v[10:11], v0
	s_wait_dscnt 0x0
	v_add_nc_u64_e32 v[26:27], v[26:27], v[36:37]
	s_mov_b32 s19, exec_lo
	s_delay_alu instid0(VALU_DEP_1)
	v_cmpx_lt_u64_e64 v[10:11], v[26:27]
	s_cbranch_execz .LBB8_180
; %bb.153:                              ;   in Loop: Header=BB8_77 Depth=1
	s_mov_b32 s20, 0
	s_mov_b32 s45, 0
                                        ; implicit-def: $sgpr21
                                        ; implicit-def: $sgpr44
	s_branch .LBB8_155
.LBB8_154:                              ;   in Loop: Header=BB8_155 Depth=2
	s_or_b32 exec_lo, exec_lo, s47
	s_delay_alu instid0(SALU_CYCLE_1) | instskip(NEXT) | instid1(SALU_CYCLE_1)
	s_and_b32 s46, exec_lo, s56
	s_or_b32 s20, s46, s20
	s_and_not1_b32 s21, s21, exec_lo
	s_and_b32 s46, s44, exec_lo
	s_delay_alu instid0(SALU_CYCLE_1)
	s_or_b32 s21, s21, s46
	s_and_not1_b32 exec_lo, exec_lo, s20
	s_cbranch_execz .LBB8_178
.LBB8_155:                              ;   Parent Loop BB8_77 Depth=1
                                        ; =>  This Inner Loop Header: Depth=2
	s_add_co_i32 s45, s45, 1
	s_delay_alu instid0(SALU_CYCLE_1) | instskip(SKIP_1) | instid1(SALU_CYCLE_1)
	s_cmp_lg_u32 s45, 0x2710
	s_cselect_b32 s46, -1, 0
	s_and_b32 vcc_lo, exec_lo, s46
	s_cbranch_vccz .LBB8_157
; %bb.156:                              ;   in Loop: Header=BB8_155 Depth=2
	s_mov_b32 s56, -1
	s_or_b32 s44, s44, exec_lo
	s_and_saveexec_b32 s47, s46
	s_cbranch_execz .LBB8_154
	s_branch .LBB8_158
.LBB8_157:                              ;   in Loop: Header=BB8_155 Depth=2
	s_trap 2
	ds_load_b64 v[10:11], v0
	s_and_not1_b32 s46, s46, exec_lo
	s_mov_b32 s45, 0
	s_wait_loadcnt_dscnt 0x0
	flat_load_b32 v10, v[10:11] scope:SCOPE_SYS
	s_wait_loadcnt_dscnt 0x0
	global_inv scope:SCOPE_SYS
	v_cmp_eq_u32_e32 vcc_lo, 0, v10
	s_and_b32 s47, vcc_lo, exec_lo
	s_delay_alu instid0(SALU_CYCLE_1)
	s_or_b32 s46, s46, s47
	s_mov_b32 s56, -1
	s_or_b32 s44, s44, exec_lo
	s_and_saveexec_b32 s47, s46
	s_cbranch_execz .LBB8_154
.LBB8_158:                              ;   in Loop: Header=BB8_155 Depth=2
	s_sleep 1
	s_trap 2
	ds_load_b64 v[10:11], v0
	s_wait_dscnt 0x0
	s_and_not1_b32 s44, s44, exec_lo
	v_cmp_ge_u64_e32 vcc_lo, v[10:11], v[26:27]
	s_or_not1_b32 s56, vcc_lo, exec_lo
	s_branch .LBB8_154
.LBB8_159:                              ;   in Loop: Header=BB8_77 Depth=1
	s_or_b32 exec_lo, exec_lo, s20
	s_and_saveexec_b32 s20, s21
	s_delay_alu instid0(SALU_CYCLE_1)
	s_xor_b32 s20, exec_lo, s20
	s_cbranch_execz .LBB8_161
; %bb.160:                              ;   in Loop: Header=BB8_77 Depth=1
	ds_store_b32 v0, v116
	s_trap 2
.LBB8_161:                              ;   in Loop: Header=BB8_77 Depth=1
	s_or_b32 exec_lo, exec_lo, s19
	;;#ASMSTART
	s_wakeup
	;;#ASMEND
.LBB8_162:                              ;   in Loop: Header=BB8_77 Depth=1
	s_or_b32 exec_lo, exec_lo, s18
.LBB8_163:                              ;   in Loop: Header=BB8_77 Depth=1
	s_and_not1_saveexec_b32 s17, s17
	s_cbranch_execz .LBB8_165
; %bb.164:                              ;   in Loop: Header=BB8_77 Depth=1
	global_wb scope:SCOPE_DEV
	s_wait_storecnt 0x0
	s_wait_loadcnt_dscnt 0x0
	global_inv scope:SCOPE_DEV
	s_barrier_signal -1
	s_barrier_wait -1
.LBB8_165:                              ;   in Loop: Header=BB8_77 Depth=1
	s_or_b32 exec_lo, exec_lo, s17
.LBB8_166:                              ;   in Loop: Header=BB8_77 Depth=1
	s_delay_alu instid0(SALU_CYCLE_1) | instskip(SKIP_3) | instid1(VALU_DEP_1)
	s_or_b32 exec_lo, exec_lo, s16
	s_trap 2
	ds_load_b32 v10, v0
	v_and_b32_e32 v11, 0x4000, v114
	v_cmp_ne_u32_e32 vcc_lo, 0, v11
	s_and_b32 s17, s29, vcc_lo
	s_delay_alu instid0(SALU_CYCLE_1)
	s_and_saveexec_b32 s16, s17
	s_cbranch_execz .LBB8_204
; %bb.167:                              ;   in Loop: Header=BB8_77 Depth=1
	s_and_saveexec_b32 s17, s4
	s_delay_alu instid0(SALU_CYCLE_1)
	s_xor_b32 s17, exec_lo, s17
	s_cbranch_execz .LBB8_201
; %bb.168:                              ;   in Loop: Header=BB8_77 Depth=1
	s_and_saveexec_b32 s18, s7
	s_cbranch_execz .LBB8_200
; %bb.169:                              ;   in Loop: Header=BB8_77 Depth=1
	s_mov_b32 s20, exec_lo
	s_mov_b32 s19, exec_lo
	v_mbcnt_lo_u32_b32 v11, s20, 0
	global_wb scope:SCOPE_DEV
	s_wait_storecnt 0x0
	s_wait_loadcnt_dscnt 0x0
	global_inv scope:SCOPE_DEV
	v_cmpx_eq_u32_e32 0, v11
	s_cbranch_execz .LBB8_171
; %bb.170:                              ;   in Loop: Header=BB8_77 Depth=1
	s_bcnt1_i32_b32 s20, s20
	s_delay_alu instid0(SALU_CYCLE_1)
	v_mov_b32_e32 v34, s20
	s_wait_loadcnt 0x0
	ds_add_u64 v0, v[34:35]
	s_trap 2
.LBB8_171:                              ;   in Loop: Header=BB8_77 Depth=1
	s_or_b32 exec_lo, exec_lo, s19
	s_trap 2
	ds_load_b64 v[12:13], v0
	s_wait_dscnt 0x0
	v_add_nc_u64_e32 v[26:27], v[26:27], v[36:37]
	s_mov_b32 s19, exec_lo
	s_delay_alu instid0(VALU_DEP_1)
	v_cmpx_lt_u64_e64 v[12:13], v[26:27]
	s_cbranch_execz .LBB8_199
; %bb.172:                              ;   in Loop: Header=BB8_77 Depth=1
	s_mov_b32 s20, 0
	s_mov_b32 s44, 0
                                        ; implicit-def: $sgpr21
                                        ; implicit-def: $sgpr43
	s_branch .LBB8_174
.LBB8_173:                              ;   in Loop: Header=BB8_174 Depth=2
	s_or_b32 exec_lo, exec_lo, s46
	s_delay_alu instid0(SALU_CYCLE_1) | instskip(NEXT) | instid1(SALU_CYCLE_1)
	s_and_b32 s45, exec_lo, s47
	s_or_b32 s20, s45, s20
	s_and_not1_b32 s21, s21, exec_lo
	s_and_b32 s45, s43, exec_lo
	s_delay_alu instid0(SALU_CYCLE_1)
	s_or_b32 s21, s21, s45
	s_and_not1_b32 exec_lo, exec_lo, s20
	s_cbranch_execz .LBB8_197
.LBB8_174:                              ;   Parent Loop BB8_77 Depth=1
                                        ; =>  This Inner Loop Header: Depth=2
	s_add_co_i32 s44, s44, 1
	s_delay_alu instid0(SALU_CYCLE_1) | instskip(SKIP_1) | instid1(SALU_CYCLE_1)
	s_cmp_lg_u32 s44, 0x2710
	s_cselect_b32 s45, -1, 0
	s_and_b32 vcc_lo, exec_lo, s45
	s_cbranch_vccz .LBB8_176
; %bb.175:                              ;   in Loop: Header=BB8_174 Depth=2
	s_mov_b32 s47, -1
	s_or_b32 s43, s43, exec_lo
	s_and_saveexec_b32 s46, s45
	s_cbranch_execz .LBB8_173
	s_branch .LBB8_177
.LBB8_176:                              ;   in Loop: Header=BB8_174 Depth=2
	s_trap 2
	ds_load_b64 v[12:13], v0
	s_and_not1_b32 s45, s45, exec_lo
	s_mov_b32 s44, 0
	s_wait_loadcnt_dscnt 0x0
	flat_load_b32 v11, v[12:13] scope:SCOPE_SYS
	s_wait_loadcnt_dscnt 0x0
	global_inv scope:SCOPE_SYS
	v_cmp_eq_u32_e32 vcc_lo, 0, v11
	s_and_b32 s46, vcc_lo, exec_lo
	s_delay_alu instid0(SALU_CYCLE_1)
	s_or_b32 s45, s45, s46
	s_mov_b32 s47, -1
	s_or_b32 s43, s43, exec_lo
	s_and_saveexec_b32 s46, s45
	s_cbranch_execz .LBB8_173
.LBB8_177:                              ;   in Loop: Header=BB8_174 Depth=2
	s_sleep 1
	s_trap 2
	ds_load_b64 v[12:13], v0
	s_wait_dscnt 0x0
	s_and_not1_b32 s43, s43, exec_lo
	v_cmp_ge_u64_e32 vcc_lo, v[12:13], v[26:27]
	s_or_not1_b32 s47, vcc_lo, exec_lo
	s_branch .LBB8_173
.LBB8_178:                              ;   in Loop: Header=BB8_77 Depth=1
	s_or_b32 exec_lo, exec_lo, s20
	s_and_saveexec_b32 s20, s21
	s_delay_alu instid0(SALU_CYCLE_1)
	s_xor_b32 s20, exec_lo, s20
	s_cbranch_execz .LBB8_180
; %bb.179:                              ;   in Loop: Header=BB8_77 Depth=1
	ds_store_b32 v0, v116
	s_trap 2
.LBB8_180:                              ;   in Loop: Header=BB8_77 Depth=1
	s_or_b32 exec_lo, exec_lo, s19
	;;#ASMSTART
	s_wakeup
	;;#ASMEND
.LBB8_181:                              ;   in Loop: Header=BB8_77 Depth=1
	s_or_b32 exec_lo, exec_lo, s18
.LBB8_182:                              ;   in Loop: Header=BB8_77 Depth=1
	s_and_not1_saveexec_b32 s17, s17
	s_cbranch_execz .LBB8_184
; %bb.183:                              ;   in Loop: Header=BB8_77 Depth=1
	global_wb scope:SCOPE_DEV
	s_wait_storecnt 0x0
	s_wait_loadcnt_dscnt 0x0
	global_inv scope:SCOPE_DEV
	s_barrier_signal -1
	s_barrier_wait -1
.LBB8_184:                              ;   in Loop: Header=BB8_77 Depth=1
	s_or_b32 exec_lo, exec_lo, s17
.LBB8_185:                              ;   in Loop: Header=BB8_77 Depth=1
	s_delay_alu instid0(SALU_CYCLE_1) | instskip(SKIP_3) | instid1(VALU_DEP_1)
	s_or_b32 exec_lo, exec_lo, s16
	s_trap 2
	ds_load_b32 v10, v0
	v_and_b32_e32 v11, 0x4000, v114
	v_cmp_ne_u32_e32 vcc_lo, 0, v11
	s_and_b32 s17, s29, vcc_lo
	s_delay_alu instid0(SALU_CYCLE_1)
	s_and_saveexec_b32 s16, s17
	s_cbranch_execz .LBB8_292
; %bb.186:                              ;   in Loop: Header=BB8_77 Depth=1
	s_and_saveexec_b32 s17, s4
	s_delay_alu instid0(SALU_CYCLE_1)
	s_xor_b32 s17, exec_lo, s17
	s_cbranch_execz .LBB8_289
; %bb.187:                              ;   in Loop: Header=BB8_77 Depth=1
	s_and_saveexec_b32 s18, s7
	s_cbranch_execz .LBB8_288
; %bb.188:                              ;   in Loop: Header=BB8_77 Depth=1
	s_mov_b32 s20, exec_lo
	s_mov_b32 s19, exec_lo
	v_mbcnt_lo_u32_b32 v11, s20, 0
	global_wb scope:SCOPE_DEV
	s_wait_storecnt 0x0
	s_wait_loadcnt_dscnt 0x0
	global_inv scope:SCOPE_DEV
	v_cmpx_eq_u32_e32 0, v11
	s_cbranch_execz .LBB8_190
; %bb.189:                              ;   in Loop: Header=BB8_77 Depth=1
	s_bcnt1_i32_b32 s20, s20
	s_delay_alu instid0(SALU_CYCLE_1)
	v_mov_b32_e32 v34, s20
	s_wait_loadcnt 0x0
	ds_add_u64 v0, v[34:35]
	s_trap 2
.LBB8_190:                              ;   in Loop: Header=BB8_77 Depth=1
	s_or_b32 exec_lo, exec_lo, s19
	s_trap 2
	ds_load_b64 v[12:13], v0
	s_wait_dscnt 0x0
	v_add_nc_u64_e32 v[26:27], v[26:27], v[36:37]
	s_mov_b32 s19, exec_lo
	s_delay_alu instid0(VALU_DEP_1)
	v_cmpx_lt_u64_e64 v[12:13], v[26:27]
	s_cbranch_execz .LBB8_287
; %bb.191:                              ;   in Loop: Header=BB8_77 Depth=1
	s_mov_b32 s20, 0
	s_mov_b32 s45, 0
                                        ; implicit-def: $sgpr21
                                        ; implicit-def: $sgpr44
	s_branch .LBB8_193
.LBB8_192:                              ;   in Loop: Header=BB8_193 Depth=2
	s_or_b32 exec_lo, exec_lo, s47
	s_delay_alu instid0(SALU_CYCLE_1) | instskip(NEXT) | instid1(SALU_CYCLE_1)
	s_and_b32 s46, exec_lo, s56
	s_or_b32 s20, s46, s20
	s_and_not1_b32 s21, s21, exec_lo
	s_and_b32 s46, s44, exec_lo
	s_delay_alu instid0(SALU_CYCLE_1)
	s_or_b32 s21, s21, s46
	s_and_not1_b32 exec_lo, exec_lo, s20
	s_cbranch_execz .LBB8_285
.LBB8_193:                              ;   Parent Loop BB8_77 Depth=1
                                        ; =>  This Inner Loop Header: Depth=2
	s_add_co_i32 s45, s45, 1
	s_delay_alu instid0(SALU_CYCLE_1) | instskip(SKIP_1) | instid1(SALU_CYCLE_1)
	s_cmp_lg_u32 s45, 0x2710
	s_cselect_b32 s46, -1, 0
	s_and_b32 vcc_lo, exec_lo, s46
	s_cbranch_vccz .LBB8_195
; %bb.194:                              ;   in Loop: Header=BB8_193 Depth=2
	s_mov_b32 s56, -1
	s_or_b32 s44, s44, exec_lo
	s_and_saveexec_b32 s47, s46
	s_cbranch_execz .LBB8_192
	s_branch .LBB8_196
.LBB8_195:                              ;   in Loop: Header=BB8_193 Depth=2
	s_trap 2
	ds_load_b64 v[12:13], v0
	s_and_not1_b32 s46, s46, exec_lo
	s_mov_b32 s45, 0
	s_wait_loadcnt_dscnt 0x0
	flat_load_b32 v11, v[12:13] scope:SCOPE_SYS
	s_wait_loadcnt_dscnt 0x0
	global_inv scope:SCOPE_SYS
	v_cmp_eq_u32_e32 vcc_lo, 0, v11
	s_and_b32 s47, vcc_lo, exec_lo
	s_delay_alu instid0(SALU_CYCLE_1)
	s_or_b32 s46, s46, s47
	s_mov_b32 s56, -1
	s_or_b32 s44, s44, exec_lo
	s_and_saveexec_b32 s47, s46
	s_cbranch_execz .LBB8_192
.LBB8_196:                              ;   in Loop: Header=BB8_193 Depth=2
	s_sleep 1
	s_trap 2
	ds_load_b64 v[12:13], v0
	s_wait_dscnt 0x0
	s_and_not1_b32 s44, s44, exec_lo
	v_cmp_ge_u64_e32 vcc_lo, v[12:13], v[26:27]
	s_or_not1_b32 s56, vcc_lo, exec_lo
	s_branch .LBB8_192
.LBB8_197:                              ;   in Loop: Header=BB8_77 Depth=1
	s_or_b32 exec_lo, exec_lo, s20
	s_and_saveexec_b32 s20, s21
	s_delay_alu instid0(SALU_CYCLE_1)
	s_xor_b32 s20, exec_lo, s20
	s_cbranch_execz .LBB8_199
; %bb.198:                              ;   in Loop: Header=BB8_77 Depth=1
	ds_store_b32 v0, v116
	s_trap 2
.LBB8_199:                              ;   in Loop: Header=BB8_77 Depth=1
	s_or_b32 exec_lo, exec_lo, s19
	;;#ASMSTART
	s_wakeup
	;;#ASMEND
.LBB8_200:                              ;   in Loop: Header=BB8_77 Depth=1
	s_or_b32 exec_lo, exec_lo, s18
.LBB8_201:                              ;   in Loop: Header=BB8_77 Depth=1
	s_and_not1_saveexec_b32 s17, s17
	s_cbranch_execz .LBB8_203
; %bb.202:                              ;   in Loop: Header=BB8_77 Depth=1
	global_wb scope:SCOPE_DEV
	s_wait_storecnt 0x0
	s_wait_loadcnt_dscnt 0x0
	global_inv scope:SCOPE_DEV
	s_barrier_signal -1
	s_barrier_wait -1
.LBB8_203:                              ;   in Loop: Header=BB8_77 Depth=1
	s_or_b32 exec_lo, exec_lo, s17
.LBB8_204:                              ;   in Loop: Header=BB8_77 Depth=1
	s_delay_alu instid0(SALU_CYCLE_1)
	s_or_b32 exec_lo, exec_lo, s16
	s_trap 2
	ds_load_b64 v[86:87], v0
	s_wait_dscnt 0x0
	v_cmp_eq_u64_e32 vcc_lo, 0, v[86:87]
	s_cbranch_vccnz .LBB8_273
; %bb.205:                              ;   in Loop: Header=BB8_77 Depth=1
	s_trap 2
	ds_load_b64 v[96:97], v0
	s_wait_dscnt 0x0
	v_cmp_eq_u64_e32 vcc_lo, 0, v[96:97]
	s_cbranch_vccnz .LBB8_273
; %bb.206:                              ;   in Loop: Header=BB8_77 Depth=1
	s_trap 2
	ds_load_b64 v[98:99], v0
	v_cmp_eq_u32_e64 s16, 0, v10
	s_delay_alu instid0(VALU_DEP_1)
	v_cndmask_b32_e64 v34, 0, v84, s16
	s_mov_b32 s16, -1
	s_wait_dscnt 0x0
	v_cmp_ne_u64_e32 vcc_lo, 0, v[98:99]
	s_cbranch_vccz .LBB8_239
; %bb.207:                              ;   in Loop: Header=BB8_77 Depth=1
	s_and_saveexec_b32 s17, s10
	s_cbranch_execz .LBB8_209
; %bb.208:                              ;   in Loop: Header=BB8_77 Depth=1
	ds_load_b32 v10, v0 offset:720
	s_wait_dscnt 0x0
	v_and_b32_e32 v10, 15, v10
	s_delay_alu instid0(VALU_DEP_1)
	v_cmp_eq_u32_e32 vcc_lo, 0, v10
	s_or_not1_b32 s16, vcc_lo, exec_lo
.LBB8_209:                              ;   in Loop: Header=BB8_77 Depth=1
	s_or_b32 exec_lo, exec_lo, s17
	s_and_saveexec_b32 s17, s11
	s_cbranch_execz .LBB8_211
; %bb.210:                              ;   in Loop: Header=BB8_77 Depth=1
	ds_load_b32 v10, v0 offset:784
	s_wait_dscnt 0x0
	v_and_b32_e32 v10, 15, v10
	s_delay_alu instid0(VALU_DEP_1) | instskip(SKIP_3) | instid1(SALU_CYCLE_1)
	v_cmp_eq_u32_e32 vcc_lo, 0, v10
	s_and_b32 s18, s16, vcc_lo
	s_and_not1_b32 s16, s16, exec_lo
	s_and_b32 s18, s18, exec_lo
	s_or_b32 s16, s16, s18
.LBB8_211:                              ;   in Loop: Header=BB8_77 Depth=1
	s_or_b32 exec_lo, exec_lo, s17
	s_xor_b32 s16, s16, -1
	v_dual_mov_b32 v85, 0 :: v_dual_mov_b32 v100, v34
	v_cndmask_b32_e64 v10, 0, 1, s16
	v_mov_b32_e32 v101, v0
	s_mov_b32 s16, -1
	s_delay_alu instid0(VALU_DEP_2)
	v_cmp_ne_u32_e32 vcc_lo, 0, v10
	v_mov_b32_e32 v10, v118
	s_cbranch_vccnz .LBB8_227
; %bb.212:                              ;   in Loop: Header=BB8_77 Depth=1
	v_ashrrev_i32_e32 v10, 31, v34
	s_mov_b32 s16, exec_lo
	s_delay_alu instid0(VALU_DEP_1) | instskip(NEXT) | instid1(VALU_DEP_1)
	v_lshrrev_b32_e32 v10, 22, v10
	v_add_nc_u32_e32 v10, v34, v10
	s_delay_alu instid0(VALU_DEP_1) | instskip(NEXT) | instid1(VALU_DEP_1)
	v_ashrrev_i32_e32 v85, 10, v10
	v_sub_nc_u32_e32 v102, v85, v118
	s_delay_alu instid0(VALU_DEP_1)
	v_cmpx_lt_i32_e32 0, v102
	s_cbranch_execz .LBB8_216
; %bb.213:                              ;   in Loop: Header=BB8_77 Depth=1
	v_add_nc_u64_e32 v[10:11], v[86:87], v[68:69]
	v_add_nc_u64_e32 v[12:13], v[96:97], v[68:69]
	;; [unrolled: 1-line block ×3, first 2 shown]
	s_mov_b32 s17, 0
.LBB8_214:                              ;   Parent Loop BB8_77 Depth=1
                                        ; =>  This Inner Loop Header: Depth=2
	s_clause 0x1
	global_load_b128 v[42:45], v[10:11], off th:TH_LOAD_NT
	global_load_b128 v[56:59], v[10:11], off offset:512 th:TH_LOAD_NT
	v_sub_nc_u32_e32 v102, v102, v36
	s_wait_xcnt 0x0
	v_add_nc_u64_e32 v[10:11], v[10:11], v[50:51]
	s_wait_loadcnt 0x1
	global_store_b128 v[12:13], v[42:45], off th:TH_STORE_NT
	s_wait_loadcnt 0x0
	global_store_b128 v[12:13], v[56:59], off offset:512 th:TH_STORE_NT
	s_clause 0x1
	global_store_b128 v[100:101], v[42:45], off th:TH_STORE_NT
	global_store_b128 v[100:101], v[56:59], off offset:512 th:TH_STORE_NT
	v_cmp_gt_i32_e32 vcc_lo, 1, v102
	s_wait_xcnt 0x2
	v_add_nc_u64_e32 v[12:13], v[12:13], v[50:51]
	s_wait_xcnt 0x0
	v_add_nc_u64_e32 v[100:101], v[100:101], v[50:51]
	s_or_b32 s17, vcc_lo, s17
	s_delay_alu instid0(SALU_CYCLE_1)
	s_and_not1_b32 exec_lo, exec_lo, s17
	s_cbranch_execnz .LBB8_214
; %bb.215:                              ;   in Loop: Header=BB8_77 Depth=1
	s_or_b32 exec_lo, exec_lo, s17
.LBB8_216:                              ;   in Loop: Header=BB8_77 Depth=1
	s_delay_alu instid0(SALU_CYCLE_1) | instskip(SKIP_3) | instid1(VALU_DEP_1)
	s_or_b32 exec_lo, exec_lo, s16
	v_dual_lshlrev_b32 v41, 10, v85 :: v_dual_mov_b32 v85, 0
	s_mov_b32 s16, 0
	s_mov_b32 s19, exec_lo
                                        ; implicit-def: $vgpr100
                                        ; implicit-def: $vgpr101
                                        ; implicit-def: $vgpr10
	v_cmpx_ne_u32_e64 v34, v41
	s_cbranch_execz .LBB8_226
; %bb.217:                              ;   in Loop: Header=BB8_77 Depth=1
	v_dual_lshlrev_b32 v10, 5, v102 :: v_dual_sub_nc_u32 v12, v34, v41
	s_mov_b32 s43, exec_lo
	s_delay_alu instid0(VALU_DEP_1) | instskip(NEXT) | instid1(VALU_DEP_1)
	v_dual_sub_nc_u32 v10, v119, v10 :: v_dual_ashrrev_i32 v13, 31, v12
	v_dual_ashrrev_i32 v11, 31, v10 :: v_dual_lshrrev_b32 v13, 23, v13
	s_delay_alu instid0(VALU_DEP_1) | instskip(NEXT) | instid1(VALU_DEP_1)
	v_lshrrev_b32_e32 v11, 27, v11
	v_dual_add_nc_u32 v11, v10, v11 :: v_dual_add_nc_u32 v13, v12, v13
	s_delay_alu instid0(VALU_DEP_1) | instskip(SKIP_1) | instid1(VALU_DEP_3)
	v_and_b32_e32 v85, 0xffffffe0, v11
	v_ashrrev_i32_e32 v11, 5, v11
	v_and_b32_e32 v42, 0xfffffe00, v13
	v_ashrrev_i32_e32 v13, 9, v13
	s_delay_alu instid0(VALU_DEP_2) | instskip(NEXT) | instid1(VALU_DEP_1)
	v_dual_sub_nc_u32 v43, v10, v85 :: v_dual_sub_nc_u32 v44, v12, v42
	v_lshlrev_b32_e32 v10, 4, v43
	s_delay_alu instid0(VALU_DEP_2) | instskip(NEXT) | instid1(VALU_DEP_2)
	v_cmp_lt_i32_e64 s16, 15, v44
	v_lshl_add_u32 v10, v11, 9, v10
	s_delay_alu instid0(VALU_DEP_2) | instskip(NEXT) | instid1(VALU_DEP_1)
	v_add_co_ci_u32_e64 v13, null, 0, v13, s16
	v_dual_sub_nc_u32 v85, v12, v10 :: v_dual_sub_nc_u32 v45, v13, v11
	s_delay_alu instid0(VALU_DEP_1)
	v_cmpx_lt_i32_e32 15, v85
	s_cbranch_execz .LBB8_223
; %bb.218:                              ;   in Loop: Header=BB8_77 Depth=1
	v_add_nc_u32_e32 v10, v10, v41
	s_mov_b32 s44, 0
	s_delay_alu instid0(VALU_DEP_1) | instskip(NEXT) | instid1(VALU_DEP_1)
	v_ashrrev_i32_e32 v11, 31, v10
	v_add_nc_u64_e32 v[100:101], v[10:11], v[86:87]
	v_add_nc_u64_e32 v[102:103], v[10:11], v[96:97]
	;; [unrolled: 1-line block ×3, first 2 shown]
.LBB8_219:                              ;   Parent Loop BB8_77 Depth=1
                                        ; =>  This Loop Header: Depth=2
                                        ;       Child Loop BB8_220 Depth 3
	global_load_b128 v[10:13], v[100:101], off th:TH_LOAD_NT
	s_mov_b64 s[20:21], 0
	s_mov_b32 s45, -1
.LBB8_220:                              ;   Parent Loop BB8_77 Depth=1
                                        ;     Parent Loop BB8_219 Depth=2
                                        ; =>    This Inner Loop Header: Depth=3
	s_cmp_eq_u32 s20, 1
	s_cselect_b32 vcc_lo, -1, 0
	s_cmp_eq_u32 s20, 0
	s_wait_xcnt 0x0
	v_dual_cndmask_b32 v47, v103, v113 :: v_dual_cndmask_b32 v46, v102, v112
	s_cselect_b32 s17, -1, 0
	s_and_b32 s18, exec_lo, s45
	s_mov_b64 s[20:21], 1
	s_mov_b32 s45, 0
	v_add_nc_u64_e32 v[56:57], 0x200, v[46:47]
	s_wait_loadcnt 0x0
	global_store_b128 v[46:47], v[10:13], off th:TH_STORE_NT
	v_dual_cndmask_b32 v113, v113, v57 :: v_dual_cndmask_b32 v112, v112, v56
	v_dual_cndmask_b32 v103, v103, v57, s17 :: v_dual_cndmask_b32 v102, v102, v56, s17
	s_mov_b32 vcc_lo, s18
	s_cbranch_vccnz .LBB8_220
; %bb.221:                              ;   in Loop: Header=BB8_219 Depth=2
	v_sub_nc_u32_e32 v85, v85, v52
	s_delay_alu instid0(VALU_DEP_2)
	v_add_nc_u64_e32 v[102:103], v[102:103], v[66:67]
	v_add_nc_u64_e32 v[112:113], v[112:113], v[66:67]
	s_wait_xcnt 0x1
	v_add_nc_u64_e32 v[100:101], v[80:81], v[100:101]
	v_sub_nc_u32_e32 v45, v45, v36
	v_cmp_gt_i32_e32 vcc_lo, 16, v85
	s_or_b32 s44, vcc_lo, s44
	s_wait_xcnt 0x0
	s_and_not1_b32 exec_lo, exec_lo, s44
	s_cbranch_execnz .LBB8_219
; %bb.222:                              ;   in Loop: Header=BB8_77 Depth=1
	s_or_b32 exec_lo, exec_lo, s44
.LBB8_223:                              ;   in Loop: Header=BB8_77 Depth=1
	s_delay_alu instid0(SALU_CYCLE_1) | instskip(SKIP_3) | instid1(VALU_DEP_1)
	s_or_b32 exec_lo, exec_lo, s43
	v_dual_mov_b32 v85, 0 :: v_dual_bitop2_b32 v11, 15, v34 bitop3:0x40
	s_mov_b32 s17, 0
	s_mov_b32 s18, exec_lo
                                        ; implicit-def: $vgpr101
                                        ; implicit-def: $vgpr10
	v_cndmask_b32_e64 v100, v44, v11, s16
	s_delay_alu instid0(VALU_DEP_1)
	v_cmpx_ne_u32_e32 0, v100
	s_cbranch_execz .LBB8_225
; %bb.224:                              ;   in Loop: Header=BB8_77 Depth=1
	v_cmp_lt_i32_e32 vcc_lo, 0, v45
	s_mov_b32 s17, exec_lo
	v_dual_cndmask_b32 v10, 0, v36 :: v_dual_sub_nc_u32 v11, v44, v11
	s_delay_alu instid0(VALU_DEP_1) | instskip(NEXT) | instid1(VALU_DEP_1)
	v_dual_cndmask_b32 v11, 0, v11, s16 :: v_dual_sub_nc_u32 v10, v10, v45
	v_add3_u32 v85, v42, v41, v11
	s_delay_alu instid0(VALU_DEP_2) | instskip(NEXT) | instid1(VALU_DEP_1)
	v_lshl_add_u32 v101, v10, 5, v43
	v_ashrrev_i32_e32 v10, 31, v101
	s_delay_alu instid0(VALU_DEP_1) | instskip(NEXT) | instid1(VALU_DEP_1)
	v_lshrrev_b32_e32 v10, 27, v10
	v_add_nc_u32_e32 v10, v101, v10
	s_delay_alu instid0(VALU_DEP_1)
	v_ashrrev_i32_e32 v10, 5, v10
.LBB8_225:                              ;   in Loop: Header=BB8_77 Depth=1
	s_or_b32 exec_lo, exec_lo, s18
	s_delay_alu instid0(SALU_CYCLE_1)
	s_and_b32 s16, s17, exec_lo
.LBB8_226:                              ;   in Loop: Header=BB8_77 Depth=1
	s_or_b32 exec_lo, exec_lo, s19
.LBB8_227:                              ;   in Loop: Header=BB8_77 Depth=1
	s_and_saveexec_b32 s20, s16
	s_cbranch_execz .LBB8_238
; %bb.228:                              ;   in Loop: Header=BB8_77 Depth=1
	v_ashrrev_i32_e32 v11, 31, v100
	s_mov_b32 s16, exec_lo
	s_delay_alu instid0(VALU_DEP_1) | instskip(NEXT) | instid1(VALU_DEP_1)
	v_dual_ashrrev_i32 v103, 31, v101 :: v_dual_lshrrev_b32 v11, 23, v11
	v_add_nc_u32_e32 v11, v100, v11
	s_delay_alu instid0(VALU_DEP_1) | instskip(NEXT) | instid1(VALU_DEP_1)
	v_ashrrev_i32_e32 v112, 9, v11
	v_sub_nc_u32_e32 v102, v112, v10
	s_delay_alu instid0(VALU_DEP_1)
	v_cmpx_lt_i32_e32 0, v102
	s_cbranch_execz .LBB8_232
; %bb.229:                              ;   in Loop: Header=BB8_77 Depth=1
	v_dual_lshrrev_b32 v11, 27, v103 :: v_dual_lshlrev_b32 v10, 9, v10
	v_add_nc_u64_e32 v[44:45], 0x1e0, v[86:87]
	s_mov_b32 s17, 0
	s_delay_alu instid0(VALU_DEP_2) | instskip(NEXT) | instid1(VALU_DEP_1)
	v_add_nc_u32_e32 v11, v101, v11
	v_and_b32_e32 v11, 0xffffffe0, v11
	s_delay_alu instid0(VALU_DEP_1) | instskip(NEXT) | instid1(VALU_DEP_1)
	v_sub_nc_u32_e32 v11, v101, v11
	v_add3_u32 v42, v85, v11, v10
	s_delay_alu instid0(VALU_DEP_1) | instskip(NEXT) | instid1(VALU_DEP_1)
	v_ashrrev_i32_e32 v43, 31, v42
	v_add_nc_u64_e32 v[10:11], v[42:43], v[96:97]
	v_add_nc_u64_e32 v[12:13], v[42:43], v[98:99]
	;; [unrolled: 1-line block ×3, first 2 shown]
.LBB8_230:                              ;   Parent Loop BB8_77 Depth=1
                                        ; =>  This Inner Loop Header: Depth=2
	s_clause 0xf
	flat_load_u8 v113, v[98:99] offset:-480 th:TH_LOAD_NT
	flat_load_u8 v41, v[98:99] offset:-448 th:TH_LOAD_NT
	;; [unrolled: 1-line block ×15, first 2 shown]
	flat_load_u8 v63, v[98:99] th:TH_LOAD_NT
	v_sub_nc_u32_e32 v102, v102, v36
	s_wait_xcnt 0x0
	v_add_nc_u64_e32 v[98:99], v[98:99], v[80:81]
	s_wait_loadcnt_dscnt 0xf0f
	flat_store_b8 v[10:11], v113 th:TH_STORE_NT
	s_wait_loadcnt_dscnt 0xe0f
	flat_store_b8 v[10:11], v41 offset:32 th:TH_STORE_NT
	s_wait_loadcnt_dscnt 0xd0f
	flat_store_b8 v[10:11], v42 offset:64 th:TH_STORE_NT
	;; [unrolled: 2-line block ×15, first 2 shown]
	s_clause 0xf
	flat_store_b8 v[12:13], v113 th:TH_STORE_NT
	flat_store_b8 v[12:13], v41 offset:32 th:TH_STORE_NT
	flat_store_b8 v[12:13], v42 offset:64 th:TH_STORE_NT
	;; [unrolled: 1-line block ×15, first 2 shown]
	v_cmp_gt_i32_e32 vcc_lo, 1, v102
	s_wait_xcnt 0x10
	v_add_nc_u64_e32 v[10:11], v[10:11], v[52:53]
	s_wait_xcnt 0x0
	v_add_nc_u64_e32 v[12:13], v[12:13], v[52:53]
	s_or_b32 s17, vcc_lo, s17
	s_delay_alu instid0(SALU_CYCLE_1)
	s_and_not1_b32 exec_lo, exec_lo, s17
	s_cbranch_execnz .LBB8_230
; %bb.231:                              ;   in Loop: Header=BB8_77 Depth=1
	s_or_b32 exec_lo, exec_lo, s17
.LBB8_232:                              ;   in Loop: Header=BB8_77 Depth=1
	s_delay_alu instid0(SALU_CYCLE_1) | instskip(SKIP_1) | instid1(VALU_DEP_1)
	s_or_b32 exec_lo, exec_lo, s16
	v_lshlrev_b32_e32 v10, 9, v112
	v_cmp_ne_u32_e32 vcc_lo, v100, v10
	s_and_b32 exec_lo, exec_lo, vcc_lo
	s_cbranch_execz .LBB8_238
; %bb.233:                              ;   in Loop: Header=BB8_77 Depth=1
	v_dual_lshrrev_b32 v11, 27, v103 :: v_dual_lshlrev_b32 v12, 5, v102
	s_delay_alu instid0(VALU_DEP_1) | instskip(NEXT) | instid1(VALU_DEP_1)
	v_add_nc_u32_e32 v11, v101, v11
	v_and_b32_e32 v11, 0xffffffe0, v11
	s_delay_alu instid0(VALU_DEP_1) | instskip(NEXT) | instid1(VALU_DEP_1)
	v_sub_nc_u32_e32 v11, v101, v11
	v_sub_nc_u32_e32 v11, v11, v12
	s_delay_alu instid0(VALU_DEP_1) | instskip(NEXT) | instid1(VALU_DEP_1)
	v_add_nc_u32_e32 v10, v10, v11
	v_sub_nc_u32_e32 v100, v100, v10
	s_delay_alu instid0(VALU_DEP_1)
	v_cmp_lt_i32_e32 vcc_lo, 0, v100
	s_and_b32 exec_lo, exec_lo, vcc_lo
	s_cbranch_execz .LBB8_238
; %bb.234:                              ;   in Loop: Header=BB8_77 Depth=1
	s_trap 2
	ds_load_b64 v[12:13], v0
	ds_load_b128 v[42:45], v0
	v_add_nc_u32_e32 v98, v10, v85
	s_mov_b32 s21, 0
	s_delay_alu instid0(VALU_DEP_1) | instskip(SKIP_1) | instid1(VALU_DEP_1)
	v_ashrrev_i32_e32 v99, 31, v98
	s_wait_dscnt 0x1
	v_add_nc_u64_e32 v[10:11], v[12:13], v[98:99]
	s_wait_dscnt 0x0
	v_add_nc_u64_e32 v[12:13], v[42:43], v[98:99]
	v_add_nc_u64_e32 v[98:99], v[44:45], v[98:99]
.LBB8_235:                              ;   Parent Loop BB8_77 Depth=1
                                        ; =>  This Loop Header: Depth=2
                                        ;       Child Loop BB8_236 Depth 3
	flat_load_u8 v85, v[10:11] th:TH_LOAD_NT
	s_mov_b64 s[18:19], 0
	s_mov_b32 s43, -1
.LBB8_236:                              ;   Parent Loop BB8_77 Depth=1
                                        ;     Parent Loop BB8_235 Depth=2
                                        ; =>    This Inner Loop Header: Depth=3
	s_cmp_eq_u32 s18, 1
	s_cselect_b32 vcc_lo, -1, 0
	s_cmp_eq_u32 s18, 0
	s_wait_xcnt 0x0
	v_dual_cndmask_b32 v103, v13, v99 :: v_dual_cndmask_b32 v102, v12, v98
	s_cselect_b32 s16, -1, 0
	s_and_b32 s17, exec_lo, s43
	s_mov_b64 s[18:19], 1
	s_mov_b32 s43, 0
	v_add_nc_u64_e32 v[112:113], 32, v[102:103]
	s_wait_loadcnt_dscnt 0x0
	flat_store_b8 v[102:103], v85 th:TH_STORE_NT
	v_dual_cndmask_b32 v99, v99, v113 :: v_dual_cndmask_b32 v98, v98, v112
	v_dual_cndmask_b32 v13, v13, v113, s16 :: v_dual_cndmask_b32 v12, v12, v112, s16
	s_mov_b32 vcc_lo, s17
	s_cbranch_vccnz .LBB8_236
; %bb.237:                              ;   in Loop: Header=BB8_235 Depth=2
	v_sub_nc_u32_e32 v100, v100, v1
	s_delay_alu instid0(VALU_DEP_2)
	v_add_nc_u64_e32 v[12:13], v[12:13], v[54:55]
	v_add_nc_u64_e32 v[98:99], v[98:99], v[54:55]
	s_wait_xcnt 0x1
	v_add_nc_u64_e32 v[10:11], v[70:71], v[10:11]
	v_cmp_gt_i32_e32 vcc_lo, 1, v100
	s_or_b32 s21, vcc_lo, s21
	s_wait_xcnt 0x0
	s_and_not1_b32 exec_lo, exec_lo, s21
	s_cbranch_execnz .LBB8_235
.LBB8_238:                              ;   in Loop: Header=BB8_77 Depth=1
	s_or_b32 exec_lo, exec_lo, s20
	s_mov_b32 s16, 0
.LBB8_239:                              ;   in Loop: Header=BB8_77 Depth=1
	s_delay_alu instid0(SALU_CYCLE_1)
	s_and_b32 vcc_lo, exec_lo, s16
	s_cbranch_vccz .LBB8_268
; %bb.240:                              ;   in Loop: Header=BB8_77 Depth=1
	s_mov_b32 s16, -1
	s_and_saveexec_b32 s17, s10
	s_cbranch_execz .LBB8_242
; %bb.241:                              ;   in Loop: Header=BB8_77 Depth=1
	ds_load_b32 v10, v0 offset:720
	s_wait_dscnt 0x0
	v_and_b32_e32 v10, 15, v10
	s_delay_alu instid0(VALU_DEP_1)
	v_cmp_eq_u32_e32 vcc_lo, 0, v10
	s_or_not1_b32 s16, vcc_lo, exec_lo
.LBB8_242:                              ;   in Loop: Header=BB8_77 Depth=1
	s_or_b32 exec_lo, exec_lo, s17
	s_and_saveexec_b32 s17, s13
	s_cbranch_execz .LBB8_244
; %bb.243:                              ;   in Loop: Header=BB8_77 Depth=1
	ds_load_b32 v10, v0 offset:784
	s_wait_dscnt 0x0
	v_and_b32_e32 v10, 15, v10
	s_delay_alu instid0(VALU_DEP_1) | instskip(SKIP_3) | instid1(SALU_CYCLE_1)
	v_cmp_eq_u32_e32 vcc_lo, 0, v10
	s_and_b32 s18, s16, vcc_lo
	s_and_not1_b32 s16, s16, exec_lo
	s_and_b32 s18, s18, exec_lo
	s_or_b32 s16, s16, s18
.LBB8_244:                              ;   in Loop: Header=BB8_77 Depth=1
	s_or_b32 exec_lo, exec_lo, s17
	s_xor_b32 s16, s16, -1
	v_dual_mov_b32 v12, 0 :: v_dual_mov_b32 v13, v34
	v_cndmask_b32_e64 v10, 0, 1, s16
	v_mov_b32_e32 v85, v0
	s_mov_b32 s18, -1
	s_delay_alu instid0(VALU_DEP_2)
	v_cmp_ne_u32_e32 vcc_lo, 0, v10
	v_mov_b32_e32 v10, v118
	s_cbranch_vccnz .LBB8_258
; %bb.245:                              ;   in Loop: Header=BB8_77 Depth=1
	v_ashrrev_i32_e32 v10, 31, v34
	s_mov_b32 s16, exec_lo
	s_delay_alu instid0(VALU_DEP_1) | instskip(NEXT) | instid1(VALU_DEP_1)
	v_lshrrev_b32_e32 v10, 21, v10
	v_add_nc_u32_e32 v10, v34, v10
	s_delay_alu instid0(VALU_DEP_1) | instskip(NEXT) | instid1(VALU_DEP_1)
	v_ashrrev_i32_e32 v85, 11, v10
	v_sub_nc_u32_e32 v99, v85, v118
	s_delay_alu instid0(VALU_DEP_1)
	v_cmpx_lt_i32_e32 0, v99
	s_cbranch_execz .LBB8_249
; %bb.246:                              ;   in Loop: Header=BB8_77 Depth=1
	v_mov_b64_e32 v[10:11], v[96:97]
	v_mov_b64_e32 v[12:13], v[86:87]
	s_mov_b32 s17, 0
.LBB8_247:                              ;   Parent Loop BB8_77 Depth=1
                                        ; =>  This Inner Loop Header: Depth=2
	s_delay_alu instid0(VALU_DEP_1)
	v_add_nc_u64_e32 v[112:113], v[82:83], v[12:13]
	v_sub_nc_u32_e32 v99, v99, v36
	v_add_nc_u64_e32 v[12:13], v[12:13], v[64:65]
	s_clause 0x3
	global_load_b128 v[100:103], v[112:113], off th:TH_LOAD_NT
	global_load_b128 v[42:45], v[112:113], off offset:512 th:TH_LOAD_NT
	global_load_b128 v[56:59], v[112:113], off offset:1024 th:TH_LOAD_NT
	;; [unrolled: 1-line block ×3, first 2 shown]
	s_wait_xcnt 0x0
	v_add_nc_u64_e32 v[112:113], v[82:83], v[10:11]
	v_cmp_gt_i32_e32 vcc_lo, 1, v99
	v_add_nc_u64_e32 v[10:11], v[10:11], v[64:65]
	s_wait_loadcnt 0x3
	global_store_b128 v[112:113], v[100:103], off th:TH_STORE_NT
	s_wait_loadcnt 0x2
	global_store_b128 v[112:113], v[42:45], off offset:512 th:TH_STORE_NT
	s_wait_loadcnt 0x1
	global_store_b128 v[112:113], v[56:59], off offset:1024 th:TH_STORE_NT
	;; [unrolled: 2-line block ×3, first 2 shown]
	s_or_b32 s17, vcc_lo, s17
	s_wait_xcnt 0x0
	s_and_not1_b32 exec_lo, exec_lo, s17
	s_cbranch_execnz .LBB8_247
; %bb.248:                              ;   in Loop: Header=BB8_77 Depth=1
	s_or_b32 exec_lo, exec_lo, s17
.LBB8_249:                              ;   in Loop: Header=BB8_77 Depth=1
	s_delay_alu instid0(SALU_CYCLE_1) | instskip(SKIP_3) | instid1(VALU_DEP_1)
	s_or_b32 exec_lo, exec_lo, s16
	v_dual_lshlrev_b32 v98, 11, v85 :: v_dual_mov_b32 v12, 0
	s_mov_b32 s18, 0
	s_mov_b32 s17, exec_lo
                                        ; implicit-def: $vgpr13
                                        ; implicit-def: $vgpr85
                                        ; implicit-def: $vgpr10
	v_cmpx_ne_u32_e64 v34, v98
	s_cbranch_execz .LBB8_257
; %bb.250:                              ;   in Loop: Header=BB8_77 Depth=1
	v_dual_lshlrev_b32 v10, 5, v99 :: v_dual_sub_nc_u32 v12, v34, v98
	s_mov_b32 s18, exec_lo
	s_delay_alu instid0(VALU_DEP_1) | instskip(NEXT) | instid1(VALU_DEP_1)
	v_dual_sub_nc_u32 v10, v119, v10 :: v_dual_ashrrev_i32 v13, 31, v12
	v_dual_ashrrev_i32 v11, 31, v10 :: v_dual_lshrrev_b32 v13, 23, v13
	s_delay_alu instid0(VALU_DEP_1) | instskip(NEXT) | instid1(VALU_DEP_1)
	v_lshrrev_b32_e32 v11, 27, v11
	v_dual_add_nc_u32 v11, v10, v11 :: v_dual_add_nc_u32 v13, v12, v13
	s_delay_alu instid0(VALU_DEP_1) | instskip(SKIP_1) | instid1(VALU_DEP_3)
	v_and_b32_e32 v85, 0xffffffe0, v11
	v_ashrrev_i32_e32 v11, 5, v11
	v_and_b32_e32 v99, 0xfffffe00, v13
	v_ashrrev_i32_e32 v13, 9, v13
	s_delay_alu instid0(VALU_DEP_2) | instskip(NEXT) | instid1(VALU_DEP_1)
	v_dual_sub_nc_u32 v100, v10, v85 :: v_dual_sub_nc_u32 v101, v12, v99
	v_lshlrev_b32_e32 v10, 4, v100
	s_delay_alu instid0(VALU_DEP_2) | instskip(NEXT) | instid1(VALU_DEP_2)
	v_cmp_lt_i32_e32 vcc_lo, 15, v101
	v_lshl_add_u32 v10, v11, 9, v10
	v_add_co_ci_u32_e64 v13, null, 0, v13, vcc_lo
	s_delay_alu instid0(VALU_DEP_1) | instskip(NEXT) | instid1(VALU_DEP_1)
	v_dual_sub_nc_u32 v12, v12, v10 :: v_dual_sub_nc_u32 v102, v13, v11
	v_cmpx_lt_i32_e32 15, v12
	s_cbranch_execz .LBB8_254
; %bb.251:                              ;   in Loop: Header=BB8_77 Depth=1
	v_add_nc_u32_e32 v10, v10, v98
	s_mov_b32 s19, 0
	s_delay_alu instid0(VALU_DEP_1)
	v_ashrrev_i32_e32 v11, 31, v10
.LBB8_252:                              ;   Parent Loop BB8_77 Depth=1
                                        ; =>  This Inner Loop Header: Depth=2
	s_delay_alu instid0(VALU_DEP_1) | instskip(SKIP_2) | instid1(VALU_DEP_2)
	v_add_nc_u64_e32 v[112:113], v[86:87], v[10:11]
	v_sub_nc_u32_e32 v12, v12, v52
	v_sub_nc_u32_e32 v102, v102, v36
	v_cmp_gt_i32_e64 s16, 16, v12
	global_load_b128 v[42:45], v[112:113], off th:TH_LOAD_NT
	s_wait_xcnt 0x0
	v_add_nc_u64_e32 v[112:113], v[96:97], v[10:11]
	v_add_nc_u64_e32 v[10:11], v[10:11], v[80:81]
	s_or_b32 s19, s16, s19
	s_wait_loadcnt 0x0
	global_store_b128 v[112:113], v[42:45], off th:TH_STORE_NT
	s_wait_xcnt 0x0
	s_and_not1_b32 exec_lo, exec_lo, s19
	s_cbranch_execnz .LBB8_252
; %bb.253:                              ;   in Loop: Header=BB8_77 Depth=1
	s_or_b32 exec_lo, exec_lo, s19
.LBB8_254:                              ;   in Loop: Header=BB8_77 Depth=1
	s_delay_alu instid0(SALU_CYCLE_1) | instskip(SKIP_3) | instid1(VALU_DEP_1)
	s_or_b32 exec_lo, exec_lo, s18
	v_dual_mov_b32 v12, 0 :: v_dual_bitop2_b32 v11, 15, v34 bitop3:0x40
	s_mov_b32 s18, 0
	s_mov_b32 s19, exec_lo
                                        ; implicit-def: $vgpr85
                                        ; implicit-def: $vgpr10
	v_cndmask_b32_e32 v13, v101, v11, vcc_lo
	s_delay_alu instid0(VALU_DEP_1)
	v_cmpx_ne_u32_e32 0, v13
	s_cbranch_execz .LBB8_256
; %bb.255:                              ;   in Loop: Header=BB8_77 Depth=1
	v_cmp_lt_i32_e64 s16, 0, v102
	s_mov_b32 s18, exec_lo
	v_dual_sub_nc_u32 v11, v101, v11 :: v_dual_cndmask_b32 v10, 0, v36, s16
	s_delay_alu instid0(VALU_DEP_1) | instskip(NEXT) | instid1(VALU_DEP_1)
	v_dual_cndmask_b32 v11, 0, v11 :: v_dual_sub_nc_u32 v10, v10, v102
	v_add3_u32 v12, v99, v98, v11
	s_delay_alu instid0(VALU_DEP_2) | instskip(NEXT) | instid1(VALU_DEP_1)
	v_lshl_add_u32 v85, v10, 5, v100
	v_ashrrev_i32_e32 v10, 31, v85
	s_delay_alu instid0(VALU_DEP_1) | instskip(NEXT) | instid1(VALU_DEP_1)
	v_lshrrev_b32_e32 v10, 27, v10
	v_add_nc_u32_e32 v10, v85, v10
	s_delay_alu instid0(VALU_DEP_1)
	v_ashrrev_i32_e32 v10, 5, v10
.LBB8_256:                              ;   in Loop: Header=BB8_77 Depth=1
	s_or_b32 exec_lo, exec_lo, s19
	s_delay_alu instid0(SALU_CYCLE_1)
	s_and_b32 s18, s18, exec_lo
.LBB8_257:                              ;   in Loop: Header=BB8_77 Depth=1
	s_or_b32 exec_lo, exec_lo, s17
.LBB8_258:                              ;   in Loop: Header=BB8_77 Depth=1
	s_and_saveexec_b32 s16, s18
	s_cbranch_execz .LBB8_267
; %bb.259:                              ;   in Loop: Header=BB8_77 Depth=1
	v_ashrrev_i32_e32 v11, 31, v13
	s_mov_b32 s17, exec_lo
	s_delay_alu instid0(VALU_DEP_1) | instskip(NEXT) | instid1(VALU_DEP_1)
	v_lshrrev_b32_e32 v11, 23, v11
	v_add_nc_u32_e32 v11, v13, v11
	s_delay_alu instid0(VALU_DEP_1) | instskip(NEXT) | instid1(VALU_DEP_1)
	v_ashrrev_i32_e32 v99, 9, v11
	v_sub_nc_u32_e32 v98, v99, v10
	s_delay_alu instid0(VALU_DEP_1)
	v_cmpx_lt_i32_e32 0, v98
	s_cbranch_execz .LBB8_263
; %bb.260:                              ;   in Loop: Header=BB8_77 Depth=1
	v_dual_ashrrev_i32 v11, 31, v85 :: v_dual_lshlrev_b32 v10, 9, v10
	s_mov_b32 s18, 0
	s_delay_alu instid0(VALU_DEP_1) | instskip(NEXT) | instid1(VALU_DEP_1)
	v_lshrrev_b32_e32 v11, 27, v11
	v_add_nc_u32_e32 v11, v85, v11
	s_delay_alu instid0(VALU_DEP_1) | instskip(NEXT) | instid1(VALU_DEP_1)
	v_and_b32_e32 v11, 0xffffffe0, v11
	v_sub_nc_u32_e32 v11, v85, v11
	s_delay_alu instid0(VALU_DEP_1) | instskip(NEXT) | instid1(VALU_DEP_1)
	v_add3_u32 v10, v12, v11, v10
	v_ashrrev_i32_e32 v11, 31, v10
.LBB8_261:                              ;   Parent Loop BB8_77 Depth=1
                                        ; =>  This Inner Loop Header: Depth=2
	s_delay_alu instid0(VALU_DEP_1)
	v_add_nc_u64_e32 v[100:101], v[10:11], v[86:87]
	v_sub_nc_u32_e32 v98, v98, v36
	v_add_nc_u64_e32 v[86:87], v[86:87], v[80:81]
	s_clause 0xf
	flat_load_u8 v102, v[100:101] th:TH_LOAD_NT
	flat_load_u8 v103, v[100:101] offset:32 th:TH_LOAD_NT
	flat_load_u8 v112, v[100:101] offset:64 th:TH_LOAD_NT
	;; [unrolled: 1-line block ×15, first 2 shown]
	s_wait_xcnt 0x0
	v_add_nc_u64_e32 v[100:101], v[10:11], v[96:97]
	v_add_nc_u64_e32 v[96:97], v[96:97], v[80:81]
	v_cmp_gt_i32_e32 vcc_lo, 1, v98
	s_wait_loadcnt_dscnt 0xf0f
	flat_store_b8 v[100:101], v102 th:TH_STORE_NT
	s_wait_loadcnt_dscnt 0xe0f
	flat_store_b8 v[100:101], v103 offset:32 th:TH_STORE_NT
	s_wait_loadcnt_dscnt 0xd0f
	flat_store_b8 v[100:101], v112 offset:64 th:TH_STORE_NT
	;; [unrolled: 2-line block ×15, first 2 shown]
	s_or_b32 s18, vcc_lo, s18
	s_wait_xcnt 0x0
	s_and_not1_b32 exec_lo, exec_lo, s18
	s_cbranch_execnz .LBB8_261
; %bb.262:                              ;   in Loop: Header=BB8_77 Depth=1
	s_or_b32 exec_lo, exec_lo, s18
.LBB8_263:                              ;   in Loop: Header=BB8_77 Depth=1
	s_delay_alu instid0(SALU_CYCLE_1) | instskip(SKIP_1) | instid1(VALU_DEP_1)
	s_or_b32 exec_lo, exec_lo, s17
	v_lshlrev_b32_e32 v10, 9, v99
	v_cmp_ne_u32_e32 vcc_lo, v13, v10
	s_and_b32 exec_lo, exec_lo, vcc_lo
	s_cbranch_execz .LBB8_267
; %bb.264:                              ;   in Loop: Header=BB8_77 Depth=1
	v_ashrrev_i32_e32 v11, 31, v85
	s_delay_alu instid0(VALU_DEP_1) | instskip(NEXT) | instid1(VALU_DEP_1)
	v_lshrrev_b32_e32 v11, 27, v11
	v_add_nc_u32_e32 v11, v85, v11
	s_delay_alu instid0(VALU_DEP_1) | instskip(NEXT) | instid1(VALU_DEP_1)
	v_and_b32_e32 v11, 0xffffffe0, v11
	v_dual_sub_nc_u32 v11, v85, v11 :: v_dual_lshlrev_b32 v85, 5, v98
	s_delay_alu instid0(VALU_DEP_1) | instskip(NEXT) | instid1(VALU_DEP_1)
	v_sub_nc_u32_e32 v11, v11, v85
	v_add_nc_u32_e32 v86, v10, v11
	s_delay_alu instid0(VALU_DEP_1) | instskip(NEXT) | instid1(VALU_DEP_1)
	v_sub_nc_u32_e32 v85, v13, v86
	v_cmp_lt_i32_e32 vcc_lo, 0, v85
	s_and_b32 exec_lo, exec_lo, vcc_lo
	s_cbranch_execz .LBB8_267
; %bb.265:                              ;   in Loop: Header=BB8_77 Depth=1
	s_trap 2
	ds_load_b64 v[10:11], v0
	v_add_nc_u32_e32 v12, v86, v12
	s_mov_b32 s17, 0
	s_delay_alu instid0(VALU_DEP_1)
	v_ashrrev_i32_e32 v13, 31, v12
.LBB8_266:                              ;   Parent Loop BB8_77 Depth=1
                                        ; =>  This Inner Loop Header: Depth=2
	s_wait_dscnt 0x0
	s_delay_alu instid0(VALU_DEP_1) | instskip(SKIP_2) | instid1(VALU_DEP_2)
	v_add_nc_u64_e32 v[86:87], v[10:11], v[12:13]
	v_sub_nc_u32_e32 v85, v85, v1
	v_add_nc_u64_e32 v[12:13], v[12:13], v[70:71]
	v_cmp_gt_i32_e32 vcc_lo, 1, v85
	flat_load_u8 v96, v[86:87] th:TH_LOAD_NT
	s_or_b32 s17, vcc_lo, s17
	s_wait_loadcnt_dscnt 0x0
	flat_store_b8 v[86:87], v96 th:TH_STORE_NT
	s_wait_xcnt 0x0
	s_and_not1_b32 exec_lo, exec_lo, s17
	s_cbranch_execnz .LBB8_266
.LBB8_267:                              ;   in Loop: Header=BB8_77 Depth=1
	s_or_b32 exec_lo, exec_lo, s16
.LBB8_268:                              ;   in Loop: Header=BB8_77 Depth=1
	v_cmp_lt_i32_e64 s16, 0, v34
	s_and_saveexec_b32 s17, s3
	s_cbranch_execnz .LBB8_274
.LBB8_269:                              ;   in Loop: Header=BB8_77 Depth=1
	s_or_b32 exec_lo, exec_lo, s17
                                        ; implicit-def: $vgpr10
	s_and_saveexec_b32 s17, s12
	s_delay_alu instid0(SALU_CYCLE_1)
	s_xor_b32 s17, exec_lo, s17
	s_cbranch_execz .LBB8_380
.LBB8_270:                              ;   in Loop: Header=BB8_77 Depth=1
	v_and_b32_e32 v10, 16, v114
	s_delay_alu instid0(VALU_DEP_1) | instskip(SKIP_2) | instid1(SALU_CYCLE_1)
	v_cmp_ne_u32_e32 vcc_lo, 0, v10
	v_and_b32_e32 v10, 16, v114
	s_and_b32 s18, vcc_lo, s16
	s_and_saveexec_b32 s16, s18
	s_cbranch_execz .LBB8_272
; %bb.271:                              ;   in Loop: Header=BB8_77 Depth=1
	v_mov_b32_e32 v10, 1
	global_wb scope:SCOPE_SYS
	s_wait_storecnt 0x0
	s_wait_loadcnt_dscnt 0x0
	global_inv scope:SCOPE_SYS
.LBB8_272:                              ;   in Loop: Header=BB8_77 Depth=1
	s_or_b32 exec_lo, exec_lo, s16
	s_and_not1_saveexec_b32 s16, s17
	s_cbranch_execz .LBB8_418
	s_branch .LBB8_381
.LBB8_273:                              ;   in Loop: Header=BB8_77 Depth=1
	s_mov_b32 s16, 0
	s_and_saveexec_b32 s17, s3
	s_cbranch_execz .LBB8_269
.LBB8_274:                              ;   in Loop: Header=BB8_77 Depth=1
	s_and_saveexec_b32 s18, s4
	s_delay_alu instid0(SALU_CYCLE_1)
	s_xor_b32 s18, exec_lo, s18
	s_cbranch_execz .LBB8_377
; %bb.275:                              ;   in Loop: Header=BB8_77 Depth=1
	s_and_saveexec_b32 s19, s7
	s_cbranch_execz .LBB8_376
; %bb.276:                              ;   in Loop: Header=BB8_77 Depth=1
	s_mov_b32 s21, exec_lo
	s_mov_b32 s20, exec_lo
	v_mbcnt_lo_u32_b32 v10, s21, 0
	global_wb scope:SCOPE_DEV
	s_wait_storecnt 0x0
	s_wait_loadcnt_dscnt 0x0
	global_inv scope:SCOPE_DEV
	v_cmpx_eq_u32_e32 0, v10
	s_cbranch_execz .LBB8_278
; %bb.277:                              ;   in Loop: Header=BB8_77 Depth=1
	s_bcnt1_i32_b32 s21, s21
	s_delay_alu instid0(SALU_CYCLE_1)
	v_mov_b32_e32 v34, s21
	s_wait_loadcnt 0x0
	ds_add_u64 v0, v[34:35]
	s_trap 2
.LBB8_278:                              ;   in Loop: Header=BB8_77 Depth=1
	s_or_b32 exec_lo, exec_lo, s20
	s_trap 2
	ds_load_b64 v[10:11], v0
	s_wait_dscnt 0x0
	v_add_nc_u64_e32 v[26:27], v[26:27], v[36:37]
	s_mov_b32 s20, exec_lo
	s_delay_alu instid0(VALU_DEP_1)
	v_cmpx_lt_u64_e64 v[10:11], v[26:27]
	s_cbranch_execz .LBB8_375
; %bb.279:                              ;   in Loop: Header=BB8_77 Depth=1
	s_mov_b32 s21, 0
	s_mov_b32 s45, 0
                                        ; implicit-def: $sgpr43
                                        ; implicit-def: $sgpr44
	s_branch .LBB8_281
.LBB8_280:                              ;   in Loop: Header=BB8_281 Depth=2
	s_or_b32 exec_lo, exec_lo, s47
	s_delay_alu instid0(SALU_CYCLE_1) | instskip(NEXT) | instid1(SALU_CYCLE_1)
	s_and_b32 s46, exec_lo, s56
	s_or_b32 s21, s46, s21
	s_and_not1_b32 s43, s43, exec_lo
	s_and_b32 s46, s44, exec_lo
	s_delay_alu instid0(SALU_CYCLE_1)
	s_or_b32 s43, s43, s46
	s_and_not1_b32 exec_lo, exec_lo, s21
	s_cbranch_execz .LBB8_373
.LBB8_281:                              ;   Parent Loop BB8_77 Depth=1
                                        ; =>  This Inner Loop Header: Depth=2
	s_add_co_i32 s45, s45, 1
	s_delay_alu instid0(SALU_CYCLE_1) | instskip(SKIP_1) | instid1(SALU_CYCLE_1)
	s_cmp_lg_u32 s45, 0x2710
	s_cselect_b32 s46, -1, 0
	s_and_b32 vcc_lo, exec_lo, s46
	s_cbranch_vccz .LBB8_283
; %bb.282:                              ;   in Loop: Header=BB8_281 Depth=2
	s_mov_b32 s56, -1
	s_or_b32 s44, s44, exec_lo
	s_and_saveexec_b32 s47, s46
	s_cbranch_execz .LBB8_280
	s_branch .LBB8_284
.LBB8_283:                              ;   in Loop: Header=BB8_281 Depth=2
	s_trap 2
	ds_load_b64 v[10:11], v0
	s_and_not1_b32 s46, s46, exec_lo
	s_mov_b32 s45, 0
	s_wait_loadcnt_dscnt 0x0
	flat_load_b32 v10, v[10:11] scope:SCOPE_SYS
	s_wait_loadcnt_dscnt 0x0
	global_inv scope:SCOPE_SYS
	v_cmp_eq_u32_e32 vcc_lo, 0, v10
	s_and_b32 s47, vcc_lo, exec_lo
	s_delay_alu instid0(SALU_CYCLE_1)
	s_or_b32 s46, s46, s47
	s_mov_b32 s56, -1
	s_or_b32 s44, s44, exec_lo
	s_and_saveexec_b32 s47, s46
	s_cbranch_execz .LBB8_280
.LBB8_284:                              ;   in Loop: Header=BB8_281 Depth=2
	s_sleep 1
	s_trap 2
	ds_load_b64 v[10:11], v0
	s_wait_dscnt 0x0
	s_and_not1_b32 s44, s44, exec_lo
	v_cmp_ge_u64_e32 vcc_lo, v[10:11], v[26:27]
	s_or_not1_b32 s56, vcc_lo, exec_lo
	s_branch .LBB8_280
.LBB8_285:                              ;   in Loop: Header=BB8_77 Depth=1
	s_or_b32 exec_lo, exec_lo, s20
	s_and_saveexec_b32 s20, s21
	s_delay_alu instid0(SALU_CYCLE_1)
	s_xor_b32 s20, exec_lo, s20
	s_cbranch_execz .LBB8_287
; %bb.286:                              ;   in Loop: Header=BB8_77 Depth=1
	ds_store_b32 v0, v116
	s_trap 2
.LBB8_287:                              ;   in Loop: Header=BB8_77 Depth=1
	s_or_b32 exec_lo, exec_lo, s19
	;;#ASMSTART
	s_wakeup
	;;#ASMEND
.LBB8_288:                              ;   in Loop: Header=BB8_77 Depth=1
	s_or_b32 exec_lo, exec_lo, s18
.LBB8_289:                              ;   in Loop: Header=BB8_77 Depth=1
	s_and_not1_saveexec_b32 s17, s17
	s_cbranch_execz .LBB8_291
; %bb.290:                              ;   in Loop: Header=BB8_77 Depth=1
	global_wb scope:SCOPE_DEV
	s_wait_storecnt 0x0
	s_wait_loadcnt_dscnt 0x0
	global_inv scope:SCOPE_DEV
	s_barrier_signal -1
	s_barrier_wait -1
.LBB8_291:                              ;   in Loop: Header=BB8_77 Depth=1
	s_or_b32 exec_lo, exec_lo, s17
.LBB8_292:                              ;   in Loop: Header=BB8_77 Depth=1
	s_delay_alu instid0(SALU_CYCLE_1)
	s_or_b32 exec_lo, exec_lo, s16
	s_trap 2
	ds_load_b64 v[86:87], v0
	s_wait_dscnt 0x0
	v_cmp_eq_u64_e32 vcc_lo, 0, v[86:87]
	s_cbranch_vccnz .LBB8_361
; %bb.293:                              ;   in Loop: Header=BB8_77 Depth=1
	s_trap 2
	ds_load_b64 v[96:97], v0
	s_wait_dscnt 0x0
	v_cmp_eq_u64_e32 vcc_lo, 0, v[96:97]
	s_cbranch_vccnz .LBB8_361
; %bb.294:                              ;   in Loop: Header=BB8_77 Depth=1
	s_trap 2
	ds_load_b64 v[98:99], v0
	v_cmp_eq_u32_e64 s16, 0, v10
	s_delay_alu instid0(VALU_DEP_1)
	v_cndmask_b32_e64 v34, 0, v84, s16
	s_mov_b32 s16, -1
	s_wait_dscnt 0x0
	v_cmp_ne_u64_e32 vcc_lo, 0, v[98:99]
	s_cbranch_vccz .LBB8_327
; %bb.295:                              ;   in Loop: Header=BB8_77 Depth=1
	s_and_saveexec_b32 s17, s13
	s_cbranch_execz .LBB8_297
; %bb.296:                              ;   in Loop: Header=BB8_77 Depth=1
	ds_load_b32 v10, v0 offset:720
	s_wait_dscnt 0x0
	v_and_b32_e32 v10, 15, v10
	s_delay_alu instid0(VALU_DEP_1)
	v_cmp_eq_u32_e32 vcc_lo, 0, v10
	s_or_not1_b32 s16, vcc_lo, exec_lo
.LBB8_297:                              ;   in Loop: Header=BB8_77 Depth=1
	s_or_b32 exec_lo, exec_lo, s17
	s_and_saveexec_b32 s17, s11
	s_cbranch_execz .LBB8_299
; %bb.298:                              ;   in Loop: Header=BB8_77 Depth=1
	ds_load_b32 v10, v0 offset:784
	s_wait_dscnt 0x0
	v_and_b32_e32 v10, 15, v10
	s_delay_alu instid0(VALU_DEP_1) | instskip(SKIP_3) | instid1(SALU_CYCLE_1)
	v_cmp_eq_u32_e32 vcc_lo, 0, v10
	s_and_b32 s18, s16, vcc_lo
	s_and_not1_b32 s16, s16, exec_lo
	s_and_b32 s18, s18, exec_lo
	s_or_b32 s16, s16, s18
.LBB8_299:                              ;   in Loop: Header=BB8_77 Depth=1
	s_or_b32 exec_lo, exec_lo, s17
	s_xor_b32 s16, s16, -1
	v_dual_mov_b32 v85, 0 :: v_dual_mov_b32 v100, v34
	v_cndmask_b32_e64 v10, 0, 1, s16
	v_mov_b32_e32 v101, v0
	s_mov_b32 s16, -1
	s_delay_alu instid0(VALU_DEP_2)
	v_cmp_ne_u32_e32 vcc_lo, 0, v10
	v_mov_b32_e32 v10, v118
	s_cbranch_vccnz .LBB8_315
; %bb.300:                              ;   in Loop: Header=BB8_77 Depth=1
	v_ashrrev_i32_e32 v10, 31, v34
	s_mov_b32 s16, exec_lo
	s_delay_alu instid0(VALU_DEP_1) | instskip(NEXT) | instid1(VALU_DEP_1)
	v_lshrrev_b32_e32 v10, 22, v10
	v_add_nc_u32_e32 v10, v34, v10
	s_delay_alu instid0(VALU_DEP_1) | instskip(NEXT) | instid1(VALU_DEP_1)
	v_ashrrev_i32_e32 v85, 10, v10
	v_sub_nc_u32_e32 v102, v85, v118
	s_delay_alu instid0(VALU_DEP_1)
	v_cmpx_lt_i32_e32 0, v102
	s_cbranch_execz .LBB8_304
; %bb.301:                              ;   in Loop: Header=BB8_77 Depth=1
	v_add_nc_u64_e32 v[10:11], v[86:87], v[68:69]
	v_add_nc_u64_e32 v[12:13], v[96:97], v[68:69]
	;; [unrolled: 1-line block ×3, first 2 shown]
	s_mov_b32 s17, 0
.LBB8_302:                              ;   Parent Loop BB8_77 Depth=1
                                        ; =>  This Inner Loop Header: Depth=2
	s_clause 0x1
	global_load_b128 v[42:45], v[10:11], off th:TH_LOAD_NT
	global_load_b128 v[56:59], v[10:11], off offset:512 th:TH_LOAD_NT
	v_sub_nc_u32_e32 v102, v102, v36
	s_wait_xcnt 0x0
	v_add_nc_u64_e32 v[10:11], v[10:11], v[50:51]
	s_wait_loadcnt 0x1
	global_store_b128 v[12:13], v[42:45], off th:TH_STORE_NT
	s_wait_loadcnt 0x0
	global_store_b128 v[12:13], v[56:59], off offset:512 th:TH_STORE_NT
	s_clause 0x1
	global_store_b128 v[100:101], v[42:45], off th:TH_STORE_NT
	global_store_b128 v[100:101], v[56:59], off offset:512 th:TH_STORE_NT
	v_cmp_gt_i32_e32 vcc_lo, 1, v102
	s_wait_xcnt 0x2
	v_add_nc_u64_e32 v[12:13], v[12:13], v[50:51]
	s_wait_xcnt 0x0
	v_add_nc_u64_e32 v[100:101], v[100:101], v[50:51]
	s_or_b32 s17, vcc_lo, s17
	s_delay_alu instid0(SALU_CYCLE_1)
	s_and_not1_b32 exec_lo, exec_lo, s17
	s_cbranch_execnz .LBB8_302
; %bb.303:                              ;   in Loop: Header=BB8_77 Depth=1
	s_or_b32 exec_lo, exec_lo, s17
.LBB8_304:                              ;   in Loop: Header=BB8_77 Depth=1
	s_delay_alu instid0(SALU_CYCLE_1) | instskip(SKIP_3) | instid1(VALU_DEP_1)
	s_or_b32 exec_lo, exec_lo, s16
	v_dual_lshlrev_b32 v41, 10, v85 :: v_dual_mov_b32 v85, 0
	s_mov_b32 s16, 0
	s_mov_b32 s19, exec_lo
                                        ; implicit-def: $vgpr100
                                        ; implicit-def: $vgpr101
                                        ; implicit-def: $vgpr10
	v_cmpx_ne_u32_e64 v34, v41
	s_cbranch_execz .LBB8_314
; %bb.305:                              ;   in Loop: Header=BB8_77 Depth=1
	v_dual_lshlrev_b32 v10, 5, v102 :: v_dual_sub_nc_u32 v12, v34, v41
	s_mov_b32 s44, exec_lo
	s_delay_alu instid0(VALU_DEP_1) | instskip(NEXT) | instid1(VALU_DEP_1)
	v_dual_sub_nc_u32 v10, v119, v10 :: v_dual_ashrrev_i32 v13, 31, v12
	v_dual_ashrrev_i32 v11, 31, v10 :: v_dual_lshrrev_b32 v13, 23, v13
	s_delay_alu instid0(VALU_DEP_1) | instskip(NEXT) | instid1(VALU_DEP_1)
	v_lshrrev_b32_e32 v11, 27, v11
	v_dual_add_nc_u32 v11, v10, v11 :: v_dual_add_nc_u32 v13, v12, v13
	s_delay_alu instid0(VALU_DEP_1) | instskip(SKIP_1) | instid1(VALU_DEP_3)
	v_and_b32_e32 v85, 0xffffffe0, v11
	v_ashrrev_i32_e32 v11, 5, v11
	v_and_b32_e32 v42, 0xfffffe00, v13
	v_ashrrev_i32_e32 v13, 9, v13
	s_delay_alu instid0(VALU_DEP_2) | instskip(NEXT) | instid1(VALU_DEP_1)
	v_dual_sub_nc_u32 v43, v10, v85 :: v_dual_sub_nc_u32 v44, v12, v42
	v_lshlrev_b32_e32 v10, 4, v43
	s_delay_alu instid0(VALU_DEP_2) | instskip(NEXT) | instid1(VALU_DEP_2)
	v_cmp_lt_i32_e64 s16, 15, v44
	v_lshl_add_u32 v10, v11, 9, v10
	s_delay_alu instid0(VALU_DEP_2) | instskip(NEXT) | instid1(VALU_DEP_1)
	v_add_co_ci_u32_e64 v13, null, 0, v13, s16
	v_dual_sub_nc_u32 v85, v12, v10 :: v_dual_sub_nc_u32 v45, v13, v11
	s_delay_alu instid0(VALU_DEP_1)
	v_cmpx_lt_i32_e32 15, v85
	s_cbranch_execz .LBB8_311
; %bb.306:                              ;   in Loop: Header=BB8_77 Depth=1
	v_add_nc_u32_e32 v10, v10, v41
	s_mov_b32 s45, 0
	s_delay_alu instid0(VALU_DEP_1) | instskip(NEXT) | instid1(VALU_DEP_1)
	v_ashrrev_i32_e32 v11, 31, v10
	v_add_nc_u64_e32 v[100:101], v[10:11], v[86:87]
	v_add_nc_u64_e32 v[102:103], v[10:11], v[96:97]
	;; [unrolled: 1-line block ×3, first 2 shown]
.LBB8_307:                              ;   Parent Loop BB8_77 Depth=1
                                        ; =>  This Loop Header: Depth=2
                                        ;       Child Loop BB8_308 Depth 3
	global_load_b128 v[10:13], v[100:101], off th:TH_LOAD_NT
	s_mov_b64 s[20:21], 0
	s_mov_b32 s46, -1
.LBB8_308:                              ;   Parent Loop BB8_77 Depth=1
                                        ;     Parent Loop BB8_307 Depth=2
                                        ; =>    This Inner Loop Header: Depth=3
	s_cmp_eq_u32 s20, 1
	s_cselect_b32 vcc_lo, -1, 0
	s_cmp_eq_u32 s20, 0
	s_wait_xcnt 0x0
	v_dual_cndmask_b32 v47, v103, v113 :: v_dual_cndmask_b32 v46, v102, v112
	s_cselect_b32 s17, -1, 0
	s_and_b32 s18, exec_lo, s46
	s_mov_b64 s[20:21], 1
	s_mov_b32 s46, 0
	v_add_nc_u64_e32 v[56:57], 0x200, v[46:47]
	s_wait_loadcnt 0x0
	global_store_b128 v[46:47], v[10:13], off th:TH_STORE_NT
	v_dual_cndmask_b32 v113, v113, v57 :: v_dual_cndmask_b32 v112, v112, v56
	v_dual_cndmask_b32 v103, v103, v57, s17 :: v_dual_cndmask_b32 v102, v102, v56, s17
	s_mov_b32 vcc_lo, s18
	s_cbranch_vccnz .LBB8_308
; %bb.309:                              ;   in Loop: Header=BB8_307 Depth=2
	v_sub_nc_u32_e32 v85, v85, v52
	s_delay_alu instid0(VALU_DEP_2)
	v_add_nc_u64_e32 v[102:103], v[102:103], v[66:67]
	v_add_nc_u64_e32 v[112:113], v[112:113], v[66:67]
	s_wait_xcnt 0x1
	v_add_nc_u64_e32 v[100:101], v[80:81], v[100:101]
	v_sub_nc_u32_e32 v45, v45, v36
	v_cmp_gt_i32_e32 vcc_lo, 16, v85
	s_or_b32 s45, vcc_lo, s45
	s_wait_xcnt 0x0
	s_and_not1_b32 exec_lo, exec_lo, s45
	s_cbranch_execnz .LBB8_307
; %bb.310:                              ;   in Loop: Header=BB8_77 Depth=1
	s_or_b32 exec_lo, exec_lo, s45
.LBB8_311:                              ;   in Loop: Header=BB8_77 Depth=1
	s_delay_alu instid0(SALU_CYCLE_1) | instskip(SKIP_3) | instid1(VALU_DEP_1)
	s_or_b32 exec_lo, exec_lo, s44
	v_dual_mov_b32 v85, 0 :: v_dual_bitop2_b32 v11, 15, v34 bitop3:0x40
	s_mov_b32 s17, 0
	s_mov_b32 s18, exec_lo
                                        ; implicit-def: $vgpr101
                                        ; implicit-def: $vgpr10
	v_cndmask_b32_e64 v100, v44, v11, s16
	s_delay_alu instid0(VALU_DEP_1)
	v_cmpx_ne_u32_e32 0, v100
	s_cbranch_execz .LBB8_313
; %bb.312:                              ;   in Loop: Header=BB8_77 Depth=1
	v_cmp_lt_i32_e32 vcc_lo, 0, v45
	s_mov_b32 s17, exec_lo
	v_dual_cndmask_b32 v10, 0, v36 :: v_dual_sub_nc_u32 v11, v44, v11
	s_delay_alu instid0(VALU_DEP_1) | instskip(NEXT) | instid1(VALU_DEP_1)
	v_dual_cndmask_b32 v11, 0, v11, s16 :: v_dual_sub_nc_u32 v10, v10, v45
	v_add3_u32 v85, v42, v41, v11
	s_delay_alu instid0(VALU_DEP_2) | instskip(NEXT) | instid1(VALU_DEP_1)
	v_lshl_add_u32 v101, v10, 5, v43
	v_ashrrev_i32_e32 v10, 31, v101
	s_delay_alu instid0(VALU_DEP_1) | instskip(NEXT) | instid1(VALU_DEP_1)
	v_lshrrev_b32_e32 v10, 27, v10
	v_add_nc_u32_e32 v10, v101, v10
	s_delay_alu instid0(VALU_DEP_1)
	v_ashrrev_i32_e32 v10, 5, v10
.LBB8_313:                              ;   in Loop: Header=BB8_77 Depth=1
	s_or_b32 exec_lo, exec_lo, s18
	s_delay_alu instid0(SALU_CYCLE_1)
	s_and_b32 s16, s17, exec_lo
.LBB8_314:                              ;   in Loop: Header=BB8_77 Depth=1
	s_or_b32 exec_lo, exec_lo, s19
.LBB8_315:                              ;   in Loop: Header=BB8_77 Depth=1
	s_and_saveexec_b32 s20, s16
	s_cbranch_execz .LBB8_326
; %bb.316:                              ;   in Loop: Header=BB8_77 Depth=1
	v_ashrrev_i32_e32 v11, 31, v100
	s_mov_b32 s16, exec_lo
	s_delay_alu instid0(VALU_DEP_1) | instskip(NEXT) | instid1(VALU_DEP_1)
	v_dual_ashrrev_i32 v103, 31, v101 :: v_dual_lshrrev_b32 v11, 23, v11
	v_add_nc_u32_e32 v11, v100, v11
	s_delay_alu instid0(VALU_DEP_1) | instskip(NEXT) | instid1(VALU_DEP_1)
	v_ashrrev_i32_e32 v112, 9, v11
	v_sub_nc_u32_e32 v102, v112, v10
	s_delay_alu instid0(VALU_DEP_1)
	v_cmpx_lt_i32_e32 0, v102
	s_cbranch_execz .LBB8_320
; %bb.317:                              ;   in Loop: Header=BB8_77 Depth=1
	v_dual_lshrrev_b32 v11, 27, v103 :: v_dual_lshlrev_b32 v10, 9, v10
	v_add_nc_u64_e32 v[44:45], 0x1e0, v[86:87]
	s_mov_b32 s17, 0
	s_delay_alu instid0(VALU_DEP_2) | instskip(NEXT) | instid1(VALU_DEP_1)
	v_add_nc_u32_e32 v11, v101, v11
	v_and_b32_e32 v11, 0xffffffe0, v11
	s_delay_alu instid0(VALU_DEP_1) | instskip(NEXT) | instid1(VALU_DEP_1)
	v_sub_nc_u32_e32 v11, v101, v11
	v_add3_u32 v42, v85, v11, v10
	s_delay_alu instid0(VALU_DEP_1) | instskip(NEXT) | instid1(VALU_DEP_1)
	v_ashrrev_i32_e32 v43, 31, v42
	v_add_nc_u64_e32 v[10:11], v[42:43], v[96:97]
	v_add_nc_u64_e32 v[12:13], v[42:43], v[98:99]
	;; [unrolled: 1-line block ×3, first 2 shown]
.LBB8_318:                              ;   Parent Loop BB8_77 Depth=1
                                        ; =>  This Inner Loop Header: Depth=2
	s_clause 0xf
	flat_load_u8 v113, v[98:99] offset:-480 th:TH_LOAD_NT
	flat_load_u8 v41, v[98:99] offset:-448 th:TH_LOAD_NT
	flat_load_u8 v42, v[98:99] offset:-416 th:TH_LOAD_NT
	flat_load_u8 v43, v[98:99] offset:-384 th:TH_LOAD_NT
	flat_load_u8 v44, v[98:99] offset:-352 th:TH_LOAD_NT
	flat_load_u8 v45, v[98:99] offset:-320 th:TH_LOAD_NT
	flat_load_u8 v46, v[98:99] offset:-288 th:TH_LOAD_NT
	flat_load_u8 v47, v[98:99] offset:-256 th:TH_LOAD_NT
	flat_load_u8 v56, v[98:99] offset:-224 th:TH_LOAD_NT
	flat_load_u8 v57, v[98:99] offset:-192 th:TH_LOAD_NT
	flat_load_u8 v58, v[98:99] offset:-160 th:TH_LOAD_NT
	flat_load_u8 v59, v[98:99] offset:-128 th:TH_LOAD_NT
	flat_load_u8 v60, v[98:99] offset:-96 th:TH_LOAD_NT
	flat_load_u8 v61, v[98:99] offset:-64 th:TH_LOAD_NT
	flat_load_u8 v62, v[98:99] offset:-32 th:TH_LOAD_NT
	flat_load_u8 v63, v[98:99] th:TH_LOAD_NT
	v_sub_nc_u32_e32 v102, v102, v36
	s_wait_xcnt 0x0
	v_add_nc_u64_e32 v[98:99], v[98:99], v[80:81]
	s_wait_loadcnt_dscnt 0xf0f
	flat_store_b8 v[10:11], v113 th:TH_STORE_NT
	s_wait_loadcnt_dscnt 0xe0f
	flat_store_b8 v[10:11], v41 offset:32 th:TH_STORE_NT
	s_wait_loadcnt_dscnt 0xd0f
	flat_store_b8 v[10:11], v42 offset:64 th:TH_STORE_NT
	;; [unrolled: 2-line block ×15, first 2 shown]
	s_clause 0xf
	flat_store_b8 v[12:13], v113 th:TH_STORE_NT
	flat_store_b8 v[12:13], v41 offset:32 th:TH_STORE_NT
	flat_store_b8 v[12:13], v42 offset:64 th:TH_STORE_NT
	;; [unrolled: 1-line block ×15, first 2 shown]
	v_cmp_gt_i32_e32 vcc_lo, 1, v102
	s_wait_xcnt 0x10
	v_add_nc_u64_e32 v[10:11], v[10:11], v[52:53]
	s_wait_xcnt 0x0
	v_add_nc_u64_e32 v[12:13], v[12:13], v[52:53]
	s_or_b32 s17, vcc_lo, s17
	s_delay_alu instid0(SALU_CYCLE_1)
	s_and_not1_b32 exec_lo, exec_lo, s17
	s_cbranch_execnz .LBB8_318
; %bb.319:                              ;   in Loop: Header=BB8_77 Depth=1
	s_or_b32 exec_lo, exec_lo, s17
.LBB8_320:                              ;   in Loop: Header=BB8_77 Depth=1
	s_delay_alu instid0(SALU_CYCLE_1) | instskip(SKIP_1) | instid1(VALU_DEP_1)
	s_or_b32 exec_lo, exec_lo, s16
	v_lshlrev_b32_e32 v10, 9, v112
	v_cmp_ne_u32_e32 vcc_lo, v100, v10
	s_and_b32 exec_lo, exec_lo, vcc_lo
	s_cbranch_execz .LBB8_326
; %bb.321:                              ;   in Loop: Header=BB8_77 Depth=1
	v_dual_lshrrev_b32 v11, 27, v103 :: v_dual_lshlrev_b32 v12, 5, v102
	s_delay_alu instid0(VALU_DEP_1) | instskip(NEXT) | instid1(VALU_DEP_1)
	v_add_nc_u32_e32 v11, v101, v11
	v_and_b32_e32 v11, 0xffffffe0, v11
	s_delay_alu instid0(VALU_DEP_1) | instskip(NEXT) | instid1(VALU_DEP_1)
	v_sub_nc_u32_e32 v11, v101, v11
	v_sub_nc_u32_e32 v11, v11, v12
	s_delay_alu instid0(VALU_DEP_1) | instskip(NEXT) | instid1(VALU_DEP_1)
	v_add_nc_u32_e32 v10, v10, v11
	v_sub_nc_u32_e32 v100, v100, v10
	s_delay_alu instid0(VALU_DEP_1)
	v_cmp_lt_i32_e32 vcc_lo, 0, v100
	s_and_b32 exec_lo, exec_lo, vcc_lo
	s_cbranch_execz .LBB8_326
; %bb.322:                              ;   in Loop: Header=BB8_77 Depth=1
	s_trap 2
	ds_load_b64 v[12:13], v0
	ds_load_b128 v[42:45], v0
	v_add_nc_u32_e32 v98, v10, v85
	s_mov_b32 s21, 0
	s_delay_alu instid0(VALU_DEP_1) | instskip(SKIP_1) | instid1(VALU_DEP_1)
	v_ashrrev_i32_e32 v99, 31, v98
	s_wait_dscnt 0x1
	v_add_nc_u64_e32 v[10:11], v[12:13], v[98:99]
	s_wait_dscnt 0x0
	v_add_nc_u64_e32 v[12:13], v[42:43], v[98:99]
	v_add_nc_u64_e32 v[98:99], v[44:45], v[98:99]
.LBB8_323:                              ;   Parent Loop BB8_77 Depth=1
                                        ; =>  This Loop Header: Depth=2
                                        ;       Child Loop BB8_324 Depth 3
	flat_load_u8 v85, v[10:11] th:TH_LOAD_NT
	s_mov_b64 s[18:19], 0
	s_mov_b32 s44, -1
.LBB8_324:                              ;   Parent Loop BB8_77 Depth=1
                                        ;     Parent Loop BB8_323 Depth=2
                                        ; =>    This Inner Loop Header: Depth=3
	s_cmp_eq_u32 s18, 1
	s_cselect_b32 vcc_lo, -1, 0
	s_cmp_eq_u32 s18, 0
	s_wait_xcnt 0x0
	v_dual_cndmask_b32 v103, v13, v99 :: v_dual_cndmask_b32 v102, v12, v98
	s_cselect_b32 s16, -1, 0
	s_and_b32 s17, exec_lo, s44
	s_mov_b64 s[18:19], 1
	s_mov_b32 s44, 0
	v_add_nc_u64_e32 v[112:113], 32, v[102:103]
	s_wait_loadcnt_dscnt 0x0
	flat_store_b8 v[102:103], v85 th:TH_STORE_NT
	v_dual_cndmask_b32 v99, v99, v113 :: v_dual_cndmask_b32 v98, v98, v112
	v_dual_cndmask_b32 v13, v13, v113, s16 :: v_dual_cndmask_b32 v12, v12, v112, s16
	s_mov_b32 vcc_lo, s17
	s_cbranch_vccnz .LBB8_324
; %bb.325:                              ;   in Loop: Header=BB8_323 Depth=2
	v_sub_nc_u32_e32 v100, v100, v1
	s_delay_alu instid0(VALU_DEP_2)
	v_add_nc_u64_e32 v[12:13], v[12:13], v[54:55]
	v_add_nc_u64_e32 v[98:99], v[98:99], v[54:55]
	s_wait_xcnt 0x1
	v_add_nc_u64_e32 v[10:11], v[70:71], v[10:11]
	v_cmp_gt_i32_e32 vcc_lo, 1, v100
	s_or_b32 s21, vcc_lo, s21
	s_wait_xcnt 0x0
	s_and_not1_b32 exec_lo, exec_lo, s21
	s_cbranch_execnz .LBB8_323
.LBB8_326:                              ;   in Loop: Header=BB8_77 Depth=1
	s_or_b32 exec_lo, exec_lo, s20
	s_mov_b32 s16, 0
.LBB8_327:                              ;   in Loop: Header=BB8_77 Depth=1
	s_delay_alu instid0(SALU_CYCLE_1)
	s_and_b32 vcc_lo, exec_lo, s16
	s_cbranch_vccz .LBB8_356
; %bb.328:                              ;   in Loop: Header=BB8_77 Depth=1
	s_mov_b32 s16, -1
	s_and_saveexec_b32 s17, s13
	s_cbranch_execz .LBB8_330
; %bb.329:                              ;   in Loop: Header=BB8_77 Depth=1
	ds_load_b32 v10, v0 offset:720
	s_wait_dscnt 0x0
	v_and_b32_e32 v10, 15, v10
	s_delay_alu instid0(VALU_DEP_1)
	v_cmp_eq_u32_e32 vcc_lo, 0, v10
	s_or_not1_b32 s16, vcc_lo, exec_lo
.LBB8_330:                              ;   in Loop: Header=BB8_77 Depth=1
	s_or_b32 exec_lo, exec_lo, s17
	s_and_saveexec_b32 s17, s13
	s_cbranch_execz .LBB8_332
; %bb.331:                              ;   in Loop: Header=BB8_77 Depth=1
	ds_load_b32 v10, v0 offset:784
	s_wait_dscnt 0x0
	v_and_b32_e32 v10, 15, v10
	s_delay_alu instid0(VALU_DEP_1) | instskip(SKIP_3) | instid1(SALU_CYCLE_1)
	v_cmp_eq_u32_e32 vcc_lo, 0, v10
	s_and_b32 s18, s16, vcc_lo
	s_and_not1_b32 s16, s16, exec_lo
	s_and_b32 s18, s18, exec_lo
	s_or_b32 s16, s16, s18
.LBB8_332:                              ;   in Loop: Header=BB8_77 Depth=1
	s_or_b32 exec_lo, exec_lo, s17
	s_xor_b32 s16, s16, -1
	v_dual_mov_b32 v12, 0 :: v_dual_mov_b32 v13, v34
	v_cndmask_b32_e64 v10, 0, 1, s16
	v_mov_b32_e32 v85, v0
	s_mov_b32 s18, -1
	s_delay_alu instid0(VALU_DEP_2)
	v_cmp_ne_u32_e32 vcc_lo, 0, v10
	v_mov_b32_e32 v10, v118
	s_cbranch_vccnz .LBB8_346
; %bb.333:                              ;   in Loop: Header=BB8_77 Depth=1
	v_ashrrev_i32_e32 v10, 31, v34
	s_mov_b32 s16, exec_lo
	s_delay_alu instid0(VALU_DEP_1) | instskip(NEXT) | instid1(VALU_DEP_1)
	v_lshrrev_b32_e32 v10, 21, v10
	v_add_nc_u32_e32 v10, v34, v10
	s_delay_alu instid0(VALU_DEP_1) | instskip(NEXT) | instid1(VALU_DEP_1)
	v_ashrrev_i32_e32 v85, 11, v10
	v_sub_nc_u32_e32 v99, v85, v118
	s_delay_alu instid0(VALU_DEP_1)
	v_cmpx_lt_i32_e32 0, v99
	s_cbranch_execz .LBB8_337
; %bb.334:                              ;   in Loop: Header=BB8_77 Depth=1
	v_mov_b64_e32 v[10:11], v[96:97]
	v_mov_b64_e32 v[12:13], v[86:87]
	s_mov_b32 s17, 0
.LBB8_335:                              ;   Parent Loop BB8_77 Depth=1
                                        ; =>  This Inner Loop Header: Depth=2
	s_delay_alu instid0(VALU_DEP_1)
	v_add_nc_u64_e32 v[112:113], v[82:83], v[12:13]
	v_sub_nc_u32_e32 v99, v99, v36
	v_add_nc_u64_e32 v[12:13], v[12:13], v[64:65]
	s_clause 0x3
	global_load_b128 v[100:103], v[112:113], off th:TH_LOAD_NT
	global_load_b128 v[42:45], v[112:113], off offset:512 th:TH_LOAD_NT
	global_load_b128 v[56:59], v[112:113], off offset:1024 th:TH_LOAD_NT
	;; [unrolled: 1-line block ×3, first 2 shown]
	s_wait_xcnt 0x0
	v_add_nc_u64_e32 v[112:113], v[82:83], v[10:11]
	v_cmp_gt_i32_e32 vcc_lo, 1, v99
	v_add_nc_u64_e32 v[10:11], v[10:11], v[64:65]
	s_wait_loadcnt 0x3
	global_store_b128 v[112:113], v[100:103], off th:TH_STORE_NT
	s_wait_loadcnt 0x2
	global_store_b128 v[112:113], v[42:45], off offset:512 th:TH_STORE_NT
	s_wait_loadcnt 0x1
	global_store_b128 v[112:113], v[56:59], off offset:1024 th:TH_STORE_NT
	;; [unrolled: 2-line block ×3, first 2 shown]
	s_or_b32 s17, vcc_lo, s17
	s_wait_xcnt 0x0
	s_and_not1_b32 exec_lo, exec_lo, s17
	s_cbranch_execnz .LBB8_335
; %bb.336:                              ;   in Loop: Header=BB8_77 Depth=1
	s_or_b32 exec_lo, exec_lo, s17
.LBB8_337:                              ;   in Loop: Header=BB8_77 Depth=1
	s_delay_alu instid0(SALU_CYCLE_1) | instskip(SKIP_3) | instid1(VALU_DEP_1)
	s_or_b32 exec_lo, exec_lo, s16
	v_dual_lshlrev_b32 v98, 11, v85 :: v_dual_mov_b32 v12, 0
	s_mov_b32 s18, 0
	s_mov_b32 s17, exec_lo
                                        ; implicit-def: $vgpr13
                                        ; implicit-def: $vgpr85
                                        ; implicit-def: $vgpr10
	v_cmpx_ne_u32_e64 v34, v98
	s_cbranch_execz .LBB8_345
; %bb.338:                              ;   in Loop: Header=BB8_77 Depth=1
	v_dual_lshlrev_b32 v10, 5, v99 :: v_dual_sub_nc_u32 v12, v34, v98
	s_mov_b32 s18, exec_lo
	s_delay_alu instid0(VALU_DEP_1) | instskip(NEXT) | instid1(VALU_DEP_1)
	v_dual_sub_nc_u32 v10, v119, v10 :: v_dual_ashrrev_i32 v13, 31, v12
	v_dual_ashrrev_i32 v11, 31, v10 :: v_dual_lshrrev_b32 v13, 23, v13
	s_delay_alu instid0(VALU_DEP_1) | instskip(NEXT) | instid1(VALU_DEP_1)
	v_lshrrev_b32_e32 v11, 27, v11
	v_dual_add_nc_u32 v11, v10, v11 :: v_dual_add_nc_u32 v13, v12, v13
	s_delay_alu instid0(VALU_DEP_1) | instskip(SKIP_1) | instid1(VALU_DEP_3)
	v_and_b32_e32 v85, 0xffffffe0, v11
	v_ashrrev_i32_e32 v11, 5, v11
	v_and_b32_e32 v99, 0xfffffe00, v13
	v_ashrrev_i32_e32 v13, 9, v13
	s_delay_alu instid0(VALU_DEP_2) | instskip(NEXT) | instid1(VALU_DEP_1)
	v_dual_sub_nc_u32 v100, v10, v85 :: v_dual_sub_nc_u32 v101, v12, v99
	v_lshlrev_b32_e32 v10, 4, v100
	s_delay_alu instid0(VALU_DEP_2) | instskip(NEXT) | instid1(VALU_DEP_2)
	v_cmp_lt_i32_e32 vcc_lo, 15, v101
	v_lshl_add_u32 v10, v11, 9, v10
	v_add_co_ci_u32_e64 v13, null, 0, v13, vcc_lo
	s_delay_alu instid0(VALU_DEP_1) | instskip(NEXT) | instid1(VALU_DEP_1)
	v_dual_sub_nc_u32 v12, v12, v10 :: v_dual_sub_nc_u32 v102, v13, v11
	v_cmpx_lt_i32_e32 15, v12
	s_cbranch_execz .LBB8_342
; %bb.339:                              ;   in Loop: Header=BB8_77 Depth=1
	v_add_nc_u32_e32 v10, v10, v98
	s_mov_b32 s19, 0
	s_delay_alu instid0(VALU_DEP_1)
	v_ashrrev_i32_e32 v11, 31, v10
.LBB8_340:                              ;   Parent Loop BB8_77 Depth=1
                                        ; =>  This Inner Loop Header: Depth=2
	s_delay_alu instid0(VALU_DEP_1) | instskip(SKIP_2) | instid1(VALU_DEP_2)
	v_add_nc_u64_e32 v[112:113], v[86:87], v[10:11]
	v_sub_nc_u32_e32 v12, v12, v52
	v_sub_nc_u32_e32 v102, v102, v36
	v_cmp_gt_i32_e64 s16, 16, v12
	global_load_b128 v[42:45], v[112:113], off th:TH_LOAD_NT
	s_wait_xcnt 0x0
	v_add_nc_u64_e32 v[112:113], v[96:97], v[10:11]
	v_add_nc_u64_e32 v[10:11], v[10:11], v[80:81]
	s_or_b32 s19, s16, s19
	s_wait_loadcnt 0x0
	global_store_b128 v[112:113], v[42:45], off th:TH_STORE_NT
	s_wait_xcnt 0x0
	s_and_not1_b32 exec_lo, exec_lo, s19
	s_cbranch_execnz .LBB8_340
; %bb.341:                              ;   in Loop: Header=BB8_77 Depth=1
	s_or_b32 exec_lo, exec_lo, s19
.LBB8_342:                              ;   in Loop: Header=BB8_77 Depth=1
	s_delay_alu instid0(SALU_CYCLE_1) | instskip(SKIP_3) | instid1(VALU_DEP_1)
	s_or_b32 exec_lo, exec_lo, s18
	v_dual_mov_b32 v12, 0 :: v_dual_bitop2_b32 v11, 15, v34 bitop3:0x40
	s_mov_b32 s18, 0
	s_mov_b32 s19, exec_lo
                                        ; implicit-def: $vgpr85
                                        ; implicit-def: $vgpr10
	v_cndmask_b32_e32 v13, v101, v11, vcc_lo
	s_delay_alu instid0(VALU_DEP_1)
	v_cmpx_ne_u32_e32 0, v13
	s_cbranch_execz .LBB8_344
; %bb.343:                              ;   in Loop: Header=BB8_77 Depth=1
	v_cmp_lt_i32_e64 s16, 0, v102
	s_mov_b32 s18, exec_lo
	v_dual_sub_nc_u32 v11, v101, v11 :: v_dual_cndmask_b32 v10, 0, v36, s16
	s_delay_alu instid0(VALU_DEP_1) | instskip(NEXT) | instid1(VALU_DEP_1)
	v_dual_cndmask_b32 v11, 0, v11 :: v_dual_sub_nc_u32 v10, v10, v102
	v_add3_u32 v12, v99, v98, v11
	s_delay_alu instid0(VALU_DEP_2) | instskip(NEXT) | instid1(VALU_DEP_1)
	v_lshl_add_u32 v85, v10, 5, v100
	v_ashrrev_i32_e32 v10, 31, v85
	s_delay_alu instid0(VALU_DEP_1) | instskip(NEXT) | instid1(VALU_DEP_1)
	v_lshrrev_b32_e32 v10, 27, v10
	v_add_nc_u32_e32 v10, v85, v10
	s_delay_alu instid0(VALU_DEP_1)
	v_ashrrev_i32_e32 v10, 5, v10
.LBB8_344:                              ;   in Loop: Header=BB8_77 Depth=1
	s_or_b32 exec_lo, exec_lo, s19
	s_delay_alu instid0(SALU_CYCLE_1)
	s_and_b32 s18, s18, exec_lo
.LBB8_345:                              ;   in Loop: Header=BB8_77 Depth=1
	s_or_b32 exec_lo, exec_lo, s17
.LBB8_346:                              ;   in Loop: Header=BB8_77 Depth=1
	s_and_saveexec_b32 s16, s18
	s_cbranch_execz .LBB8_355
; %bb.347:                              ;   in Loop: Header=BB8_77 Depth=1
	v_ashrrev_i32_e32 v11, 31, v13
	s_mov_b32 s17, exec_lo
	s_delay_alu instid0(VALU_DEP_1) | instskip(NEXT) | instid1(VALU_DEP_1)
	v_lshrrev_b32_e32 v11, 23, v11
	v_add_nc_u32_e32 v11, v13, v11
	s_delay_alu instid0(VALU_DEP_1) | instskip(NEXT) | instid1(VALU_DEP_1)
	v_ashrrev_i32_e32 v99, 9, v11
	v_sub_nc_u32_e32 v98, v99, v10
	s_delay_alu instid0(VALU_DEP_1)
	v_cmpx_lt_i32_e32 0, v98
	s_cbranch_execz .LBB8_351
; %bb.348:                              ;   in Loop: Header=BB8_77 Depth=1
	v_dual_ashrrev_i32 v11, 31, v85 :: v_dual_lshlrev_b32 v10, 9, v10
	s_mov_b32 s18, 0
	s_delay_alu instid0(VALU_DEP_1) | instskip(NEXT) | instid1(VALU_DEP_1)
	v_lshrrev_b32_e32 v11, 27, v11
	v_add_nc_u32_e32 v11, v85, v11
	s_delay_alu instid0(VALU_DEP_1) | instskip(NEXT) | instid1(VALU_DEP_1)
	v_and_b32_e32 v11, 0xffffffe0, v11
	v_sub_nc_u32_e32 v11, v85, v11
	s_delay_alu instid0(VALU_DEP_1) | instskip(NEXT) | instid1(VALU_DEP_1)
	v_add3_u32 v10, v12, v11, v10
	v_ashrrev_i32_e32 v11, 31, v10
.LBB8_349:                              ;   Parent Loop BB8_77 Depth=1
                                        ; =>  This Inner Loop Header: Depth=2
	s_delay_alu instid0(VALU_DEP_1)
	v_add_nc_u64_e32 v[100:101], v[10:11], v[86:87]
	v_sub_nc_u32_e32 v98, v98, v36
	v_add_nc_u64_e32 v[86:87], v[86:87], v[80:81]
	s_clause 0xf
	flat_load_u8 v102, v[100:101] th:TH_LOAD_NT
	flat_load_u8 v103, v[100:101] offset:32 th:TH_LOAD_NT
	flat_load_u8 v112, v[100:101] offset:64 th:TH_LOAD_NT
	;; [unrolled: 1-line block ×15, first 2 shown]
	s_wait_xcnt 0x0
	v_add_nc_u64_e32 v[100:101], v[10:11], v[96:97]
	v_add_nc_u64_e32 v[96:97], v[96:97], v[80:81]
	v_cmp_gt_i32_e32 vcc_lo, 1, v98
	s_wait_loadcnt_dscnt 0xf0f
	flat_store_b8 v[100:101], v102 th:TH_STORE_NT
	s_wait_loadcnt_dscnt 0xe0f
	flat_store_b8 v[100:101], v103 offset:32 th:TH_STORE_NT
	s_wait_loadcnt_dscnt 0xd0f
	flat_store_b8 v[100:101], v112 offset:64 th:TH_STORE_NT
	;; [unrolled: 2-line block ×15, first 2 shown]
	s_or_b32 s18, vcc_lo, s18
	s_wait_xcnt 0x0
	s_and_not1_b32 exec_lo, exec_lo, s18
	s_cbranch_execnz .LBB8_349
; %bb.350:                              ;   in Loop: Header=BB8_77 Depth=1
	s_or_b32 exec_lo, exec_lo, s18
.LBB8_351:                              ;   in Loop: Header=BB8_77 Depth=1
	s_delay_alu instid0(SALU_CYCLE_1) | instskip(SKIP_1) | instid1(VALU_DEP_1)
	s_or_b32 exec_lo, exec_lo, s17
	v_lshlrev_b32_e32 v10, 9, v99
	v_cmp_ne_u32_e32 vcc_lo, v13, v10
	s_and_b32 exec_lo, exec_lo, vcc_lo
	s_cbranch_execz .LBB8_355
; %bb.352:                              ;   in Loop: Header=BB8_77 Depth=1
	v_ashrrev_i32_e32 v11, 31, v85
	s_delay_alu instid0(VALU_DEP_1) | instskip(NEXT) | instid1(VALU_DEP_1)
	v_lshrrev_b32_e32 v11, 27, v11
	v_add_nc_u32_e32 v11, v85, v11
	s_delay_alu instid0(VALU_DEP_1) | instskip(NEXT) | instid1(VALU_DEP_1)
	v_and_b32_e32 v11, 0xffffffe0, v11
	v_dual_sub_nc_u32 v11, v85, v11 :: v_dual_lshlrev_b32 v85, 5, v98
	s_delay_alu instid0(VALU_DEP_1) | instskip(NEXT) | instid1(VALU_DEP_1)
	v_sub_nc_u32_e32 v11, v11, v85
	v_add_nc_u32_e32 v86, v10, v11
	s_delay_alu instid0(VALU_DEP_1) | instskip(NEXT) | instid1(VALU_DEP_1)
	v_sub_nc_u32_e32 v85, v13, v86
	v_cmp_lt_i32_e32 vcc_lo, 0, v85
	s_and_b32 exec_lo, exec_lo, vcc_lo
	s_cbranch_execz .LBB8_355
; %bb.353:                              ;   in Loop: Header=BB8_77 Depth=1
	s_trap 2
	ds_load_b64 v[10:11], v0
	v_add_nc_u32_e32 v12, v86, v12
	s_mov_b32 s17, 0
	s_delay_alu instid0(VALU_DEP_1)
	v_ashrrev_i32_e32 v13, 31, v12
.LBB8_354:                              ;   Parent Loop BB8_77 Depth=1
                                        ; =>  This Inner Loop Header: Depth=2
	s_wait_dscnt 0x0
	s_delay_alu instid0(VALU_DEP_1) | instskip(SKIP_2) | instid1(VALU_DEP_2)
	v_add_nc_u64_e32 v[86:87], v[10:11], v[12:13]
	v_sub_nc_u32_e32 v85, v85, v1
	v_add_nc_u64_e32 v[12:13], v[12:13], v[70:71]
	v_cmp_gt_i32_e32 vcc_lo, 1, v85
	flat_load_u8 v96, v[86:87] th:TH_LOAD_NT
	s_or_b32 s17, vcc_lo, s17
	s_wait_loadcnt_dscnt 0x0
	flat_store_b8 v[86:87], v96 th:TH_STORE_NT
	s_wait_xcnt 0x0
	s_and_not1_b32 exec_lo, exec_lo, s17
	s_cbranch_execnz .LBB8_354
.LBB8_355:                              ;   in Loop: Header=BB8_77 Depth=1
	s_or_b32 exec_lo, exec_lo, s16
.LBB8_356:                              ;   in Loop: Header=BB8_77 Depth=1
	v_cmp_lt_i32_e64 s16, 0, v34
	s_and_saveexec_b32 s17, s3
	s_cbranch_execnz .LBB8_362
.LBB8_357:                              ;   in Loop: Header=BB8_77 Depth=1
	s_or_b32 exec_lo, exec_lo, s17
                                        ; implicit-def: $vgpr10
	s_and_saveexec_b32 s17, s12
	s_delay_alu instid0(SALU_CYCLE_1)
	s_xor_b32 s17, exec_lo, s17
	s_cbranch_execz .LBB8_399
.LBB8_358:                              ;   in Loop: Header=BB8_77 Depth=1
	v_and_b32_e32 v10, 16, v114
	s_delay_alu instid0(VALU_DEP_1) | instskip(SKIP_2) | instid1(SALU_CYCLE_1)
	v_cmp_ne_u32_e32 vcc_lo, 0, v10
	v_and_b32_e32 v10, 16, v114
	s_and_b32 s18, vcc_lo, s16
	s_and_saveexec_b32 s16, s18
	s_cbranch_execz .LBB8_360
; %bb.359:                              ;   in Loop: Header=BB8_77 Depth=1
	v_mov_b32_e32 v10, 1
	global_wb scope:SCOPE_SYS
	s_wait_storecnt 0x0
	s_wait_loadcnt_dscnt 0x0
	global_inv scope:SCOPE_SYS
.LBB8_360:                              ;   in Loop: Header=BB8_77 Depth=1
	s_or_b32 exec_lo, exec_lo, s16
	s_and_not1_saveexec_b32 s16, s17
	s_cbranch_execz .LBB8_473
	s_branch .LBB8_400
.LBB8_361:                              ;   in Loop: Header=BB8_77 Depth=1
	s_mov_b32 s16, 0
	s_and_saveexec_b32 s17, s3
	s_cbranch_execz .LBB8_357
.LBB8_362:                              ;   in Loop: Header=BB8_77 Depth=1
	s_and_saveexec_b32 s18, s4
	s_delay_alu instid0(SALU_CYCLE_1)
	s_xor_b32 s18, exec_lo, s18
	s_cbranch_execz .LBB8_396
; %bb.363:                              ;   in Loop: Header=BB8_77 Depth=1
	s_and_saveexec_b32 s19, s7
	s_cbranch_execz .LBB8_395
; %bb.364:                              ;   in Loop: Header=BB8_77 Depth=1
	s_mov_b32 s21, exec_lo
	s_mov_b32 s20, exec_lo
	v_mbcnt_lo_u32_b32 v10, s21, 0
	global_wb scope:SCOPE_DEV
	s_wait_storecnt 0x0
	s_wait_loadcnt_dscnt 0x0
	global_inv scope:SCOPE_DEV
	v_cmpx_eq_u32_e32 0, v10
	s_cbranch_execz .LBB8_366
; %bb.365:                              ;   in Loop: Header=BB8_77 Depth=1
	s_bcnt1_i32_b32 s21, s21
	s_delay_alu instid0(SALU_CYCLE_1)
	v_mov_b32_e32 v34, s21
	s_wait_loadcnt 0x0
	ds_add_u64 v0, v[34:35]
	s_trap 2
.LBB8_366:                              ;   in Loop: Header=BB8_77 Depth=1
	s_or_b32 exec_lo, exec_lo, s20
	s_trap 2
	ds_load_b64 v[10:11], v0
	s_wait_dscnt 0x0
	v_add_nc_u64_e32 v[26:27], v[26:27], v[36:37]
	s_mov_b32 s20, exec_lo
	s_delay_alu instid0(VALU_DEP_1)
	v_cmpx_lt_u64_e64 v[10:11], v[26:27]
	s_cbranch_execz .LBB8_394
; %bb.367:                              ;   in Loop: Header=BB8_77 Depth=1
	s_mov_b32 s21, 0
	s_mov_b32 s46, 0
                                        ; implicit-def: $sgpr44
                                        ; implicit-def: $sgpr45
	s_branch .LBB8_369
.LBB8_368:                              ;   in Loop: Header=BB8_369 Depth=2
	s_or_b32 exec_lo, exec_lo, s56
	s_delay_alu instid0(SALU_CYCLE_1) | instskip(NEXT) | instid1(SALU_CYCLE_1)
	s_and_b32 s47, exec_lo, s57
	s_or_b32 s21, s47, s21
	s_and_not1_b32 s44, s44, exec_lo
	s_and_b32 s47, s45, exec_lo
	s_delay_alu instid0(SALU_CYCLE_1)
	s_or_b32 s44, s44, s47
	s_and_not1_b32 exec_lo, exec_lo, s21
	s_cbranch_execz .LBB8_392
.LBB8_369:                              ;   Parent Loop BB8_77 Depth=1
                                        ; =>  This Inner Loop Header: Depth=2
	s_add_co_i32 s46, s46, 1
	s_delay_alu instid0(SALU_CYCLE_1) | instskip(SKIP_1) | instid1(SALU_CYCLE_1)
	s_cmp_lg_u32 s46, 0x2710
	s_cselect_b32 s47, -1, 0
	s_and_b32 vcc_lo, exec_lo, s47
	s_cbranch_vccz .LBB8_371
; %bb.370:                              ;   in Loop: Header=BB8_369 Depth=2
	s_mov_b32 s57, -1
	s_or_b32 s45, s45, exec_lo
	s_and_saveexec_b32 s56, s47
	s_cbranch_execz .LBB8_368
	s_branch .LBB8_372
.LBB8_371:                              ;   in Loop: Header=BB8_369 Depth=2
	s_trap 2
	ds_load_b64 v[10:11], v0
	s_and_not1_b32 s47, s47, exec_lo
	s_mov_b32 s46, 0
	s_wait_loadcnt_dscnt 0x0
	flat_load_b32 v10, v[10:11] scope:SCOPE_SYS
	s_wait_loadcnt_dscnt 0x0
	global_inv scope:SCOPE_SYS
	v_cmp_eq_u32_e32 vcc_lo, 0, v10
	s_and_b32 s56, vcc_lo, exec_lo
	s_delay_alu instid0(SALU_CYCLE_1)
	s_or_b32 s47, s47, s56
	s_mov_b32 s57, -1
	s_or_b32 s45, s45, exec_lo
	s_and_saveexec_b32 s56, s47
	s_cbranch_execz .LBB8_368
.LBB8_372:                              ;   in Loop: Header=BB8_369 Depth=2
	s_sleep 1
	s_trap 2
	ds_load_b64 v[10:11], v0
	s_wait_dscnt 0x0
	s_and_not1_b32 s45, s45, exec_lo
	v_cmp_ge_u64_e32 vcc_lo, v[10:11], v[26:27]
	s_or_not1_b32 s57, vcc_lo, exec_lo
	s_branch .LBB8_368
.LBB8_373:                              ;   in Loop: Header=BB8_77 Depth=1
	s_or_b32 exec_lo, exec_lo, s21
	s_and_saveexec_b32 s21, s43
	s_delay_alu instid0(SALU_CYCLE_1)
	s_xor_b32 s21, exec_lo, s21
	s_cbranch_execz .LBB8_375
; %bb.374:                              ;   in Loop: Header=BB8_77 Depth=1
	ds_store_b32 v0, v116
	s_trap 2
.LBB8_375:                              ;   in Loop: Header=BB8_77 Depth=1
	s_or_b32 exec_lo, exec_lo, s20
	;;#ASMSTART
	s_wakeup
	;;#ASMEND
.LBB8_376:                              ;   in Loop: Header=BB8_77 Depth=1
	s_or_b32 exec_lo, exec_lo, s19
.LBB8_377:                              ;   in Loop: Header=BB8_77 Depth=1
	s_and_not1_saveexec_b32 s18, s18
	s_cbranch_execz .LBB8_379
; %bb.378:                              ;   in Loop: Header=BB8_77 Depth=1
	global_wb scope:SCOPE_DEV
	s_wait_storecnt 0x0
	s_wait_loadcnt_dscnt 0x0
	global_inv scope:SCOPE_DEV
	s_barrier_signal -1
	s_barrier_wait -1
.LBB8_379:                              ;   in Loop: Header=BB8_77 Depth=1
	s_or_b32 exec_lo, exec_lo, s18
	s_delay_alu instid0(SALU_CYCLE_1) | instskip(SKIP_1) | instid1(SALU_CYCLE_1)
	s_or_b32 exec_lo, exec_lo, s17
                                        ; implicit-def: $vgpr10
	s_and_saveexec_b32 s17, s12
	s_xor_b32 s17, exec_lo, s17
	s_cbranch_execnz .LBB8_270
.LBB8_380:                              ;   in Loop: Header=BB8_77 Depth=1
	s_and_not1_saveexec_b32 s16, s17
	s_cbranch_execz .LBB8_418
.LBB8_381:                              ;   in Loop: Header=BB8_77 Depth=1
	s_and_saveexec_b32 s17, s4
	s_delay_alu instid0(SALU_CYCLE_1)
	s_xor_b32 s17, exec_lo, s17
	s_cbranch_execz .LBB8_415
; %bb.382:                              ;   in Loop: Header=BB8_77 Depth=1
	s_and_saveexec_b32 s18, s7
	s_cbranch_execz .LBB8_414
; %bb.383:                              ;   in Loop: Header=BB8_77 Depth=1
	s_mov_b32 s20, exec_lo
	s_mov_b32 s19, exec_lo
	v_mbcnt_lo_u32_b32 v10, s20, 0
	;;#ASMSTART
	s_waitcnt lgkmcnt(0) vmcnt(0)
	;;#ASMEND
	s_delay_alu instid0(VALU_DEP_1)
	v_cmpx_eq_u32_e32 0, v10
	s_cbranch_execz .LBB8_385
; %bb.384:                              ;   in Loop: Header=BB8_77 Depth=1
	s_bcnt1_i32_b32 s20, s20
	s_delay_alu instid0(SALU_CYCLE_1)
	v_mov_b32_e32 v34, s20
	s_wait_storecnt 0x0
	s_wait_loadcnt_dscnt 0x0
	ds_add_u64 v0, v[34:35]
	s_trap 2
.LBB8_385:                              ;   in Loop: Header=BB8_77 Depth=1
	s_or_b32 exec_lo, exec_lo, s19
	s_trap 2
	ds_load_b64 v[10:11], v0
	s_wait_dscnt 0x0
	v_add_nc_u64_e32 v[26:27], v[26:27], v[36:37]
	s_mov_b32 s19, exec_lo
	s_delay_alu instid0(VALU_DEP_1)
	v_cmpx_lt_u64_e64 v[10:11], v[26:27]
	s_cbranch_execz .LBB8_413
; %bb.386:                              ;   in Loop: Header=BB8_77 Depth=1
	s_mov_b32 s20, 0
	s_mov_b32 s44, 0
                                        ; implicit-def: $sgpr21
                                        ; implicit-def: $sgpr43
	s_branch .LBB8_388
.LBB8_387:                              ;   in Loop: Header=BB8_388 Depth=2
	s_or_b32 exec_lo, exec_lo, s46
	s_delay_alu instid0(SALU_CYCLE_1) | instskip(NEXT) | instid1(SALU_CYCLE_1)
	s_and_b32 s45, exec_lo, s47
	s_or_b32 s20, s45, s20
	s_and_not1_b32 s21, s21, exec_lo
	s_and_b32 s45, s43, exec_lo
	s_delay_alu instid0(SALU_CYCLE_1)
	s_or_b32 s21, s21, s45
	s_and_not1_b32 exec_lo, exec_lo, s20
	s_cbranch_execz .LBB8_411
.LBB8_388:                              ;   Parent Loop BB8_77 Depth=1
                                        ; =>  This Inner Loop Header: Depth=2
	s_add_co_i32 s44, s44, 1
	s_delay_alu instid0(SALU_CYCLE_1) | instskip(SKIP_1) | instid1(SALU_CYCLE_1)
	s_cmp_lg_u32 s44, 0x2710
	s_cselect_b32 s45, -1, 0
	s_and_b32 vcc_lo, exec_lo, s45
	s_cbranch_vccz .LBB8_390
; %bb.389:                              ;   in Loop: Header=BB8_388 Depth=2
	s_mov_b32 s47, -1
	s_or_b32 s43, s43, exec_lo
	s_and_saveexec_b32 s46, s45
	s_cbranch_execz .LBB8_387
	s_branch .LBB8_391
.LBB8_390:                              ;   in Loop: Header=BB8_388 Depth=2
	s_trap 2
	ds_load_b64 v[10:11], v0
	s_and_not1_b32 s45, s45, exec_lo
	s_mov_b32 s44, 0
	s_wait_storecnt 0x0
	s_wait_loadcnt_dscnt 0x0
	flat_load_b32 v10, v[10:11] scope:SCOPE_SYS
	s_wait_loadcnt_dscnt 0x0
	global_inv scope:SCOPE_SYS
	v_cmp_eq_u32_e32 vcc_lo, 0, v10
	s_and_b32 s46, vcc_lo, exec_lo
	s_delay_alu instid0(SALU_CYCLE_1)
	s_or_b32 s45, s45, s46
	s_mov_b32 s47, -1
	s_or_b32 s43, s43, exec_lo
	s_and_saveexec_b32 s46, s45
	s_cbranch_execz .LBB8_387
.LBB8_391:                              ;   in Loop: Header=BB8_388 Depth=2
	s_sleep 1
	s_trap 2
	ds_load_b64 v[10:11], v0
	s_wait_dscnt 0x0
	s_and_not1_b32 s43, s43, exec_lo
	v_cmp_ge_u64_e32 vcc_lo, v[10:11], v[26:27]
	s_or_not1_b32 s47, vcc_lo, exec_lo
	s_branch .LBB8_387
.LBB8_392:                              ;   in Loop: Header=BB8_77 Depth=1
	s_or_b32 exec_lo, exec_lo, s21
	s_and_saveexec_b32 s21, s44
	s_delay_alu instid0(SALU_CYCLE_1)
	s_xor_b32 s21, exec_lo, s21
	s_cbranch_execz .LBB8_394
; %bb.393:                              ;   in Loop: Header=BB8_77 Depth=1
	ds_store_b32 v0, v116
	s_trap 2
.LBB8_394:                              ;   in Loop: Header=BB8_77 Depth=1
	s_or_b32 exec_lo, exec_lo, s20
	;;#ASMSTART
	s_wakeup
	;;#ASMEND
.LBB8_395:                              ;   in Loop: Header=BB8_77 Depth=1
	s_or_b32 exec_lo, exec_lo, s19
.LBB8_396:                              ;   in Loop: Header=BB8_77 Depth=1
	s_and_not1_saveexec_b32 s18, s18
	s_cbranch_execz .LBB8_398
; %bb.397:                              ;   in Loop: Header=BB8_77 Depth=1
	global_wb scope:SCOPE_DEV
	s_wait_storecnt 0x0
	s_wait_loadcnt_dscnt 0x0
	global_inv scope:SCOPE_DEV
	s_barrier_signal -1
	s_barrier_wait -1
.LBB8_398:                              ;   in Loop: Header=BB8_77 Depth=1
	s_or_b32 exec_lo, exec_lo, s18
	s_delay_alu instid0(SALU_CYCLE_1) | instskip(SKIP_1) | instid1(SALU_CYCLE_1)
	s_or_b32 exec_lo, exec_lo, s17
                                        ; implicit-def: $vgpr10
	s_and_saveexec_b32 s17, s12
	s_xor_b32 s17, exec_lo, s17
	s_cbranch_execnz .LBB8_358
.LBB8_399:                              ;   in Loop: Header=BB8_77 Depth=1
	s_and_not1_saveexec_b32 s16, s17
	s_cbranch_execz .LBB8_473
.LBB8_400:                              ;   in Loop: Header=BB8_77 Depth=1
	s_and_saveexec_b32 s17, s4
	s_delay_alu instid0(SALU_CYCLE_1)
	s_xor_b32 s17, exec_lo, s17
	s_cbranch_execz .LBB8_470
; %bb.401:                              ;   in Loop: Header=BB8_77 Depth=1
	s_and_saveexec_b32 s18, s7
	s_cbranch_execz .LBB8_469
; %bb.402:                              ;   in Loop: Header=BB8_77 Depth=1
	s_mov_b32 s20, exec_lo
	s_mov_b32 s19, exec_lo
	v_mbcnt_lo_u32_b32 v10, s20, 0
	;;#ASMSTART
	s_waitcnt lgkmcnt(0) vmcnt(0)
	;;#ASMEND
	s_delay_alu instid0(VALU_DEP_1)
	v_cmpx_eq_u32_e32 0, v10
	s_cbranch_execz .LBB8_404
; %bb.403:                              ;   in Loop: Header=BB8_77 Depth=1
	s_bcnt1_i32_b32 s20, s20
	s_delay_alu instid0(SALU_CYCLE_1)
	v_mov_b32_e32 v34, s20
	s_wait_storecnt 0x0
	s_wait_loadcnt_dscnt 0x0
	ds_add_u64 v0, v[34:35]
	s_trap 2
.LBB8_404:                              ;   in Loop: Header=BB8_77 Depth=1
	s_or_b32 exec_lo, exec_lo, s19
	s_trap 2
	ds_load_b64 v[10:11], v0
	s_wait_dscnt 0x0
	v_add_nc_u64_e32 v[26:27], v[26:27], v[36:37]
	s_mov_b32 s19, exec_lo
	s_delay_alu instid0(VALU_DEP_1)
	v_cmpx_lt_u64_e64 v[10:11], v[26:27]
	s_cbranch_execz .LBB8_468
; %bb.405:                              ;   in Loop: Header=BB8_77 Depth=1
	s_mov_b32 s20, 0
	s_mov_b32 s45, 0
                                        ; implicit-def: $sgpr21
                                        ; implicit-def: $sgpr44
	s_branch .LBB8_407
.LBB8_406:                              ;   in Loop: Header=BB8_407 Depth=2
	s_or_b32 exec_lo, exec_lo, s47
	s_delay_alu instid0(SALU_CYCLE_1) | instskip(NEXT) | instid1(SALU_CYCLE_1)
	s_and_b32 s46, exec_lo, s56
	s_or_b32 s20, s46, s20
	s_and_not1_b32 s21, s21, exec_lo
	s_and_b32 s46, s44, exec_lo
	s_delay_alu instid0(SALU_CYCLE_1)
	s_or_b32 s21, s21, s46
	s_and_not1_b32 exec_lo, exec_lo, s20
	s_cbranch_execz .LBB8_466
.LBB8_407:                              ;   Parent Loop BB8_77 Depth=1
                                        ; =>  This Inner Loop Header: Depth=2
	s_add_co_i32 s45, s45, 1
	s_delay_alu instid0(SALU_CYCLE_1) | instskip(SKIP_1) | instid1(SALU_CYCLE_1)
	s_cmp_lg_u32 s45, 0x2710
	s_cselect_b32 s46, -1, 0
	s_and_b32 vcc_lo, exec_lo, s46
	s_cbranch_vccz .LBB8_409
; %bb.408:                              ;   in Loop: Header=BB8_407 Depth=2
	s_mov_b32 s56, -1
	s_or_b32 s44, s44, exec_lo
	s_and_saveexec_b32 s47, s46
	s_cbranch_execz .LBB8_406
	s_branch .LBB8_410
.LBB8_409:                              ;   in Loop: Header=BB8_407 Depth=2
	s_trap 2
	ds_load_b64 v[10:11], v0
	s_and_not1_b32 s46, s46, exec_lo
	s_mov_b32 s45, 0
	s_wait_storecnt 0x0
	s_wait_loadcnt_dscnt 0x0
	flat_load_b32 v10, v[10:11] scope:SCOPE_SYS
	s_wait_loadcnt_dscnt 0x0
	global_inv scope:SCOPE_SYS
	v_cmp_eq_u32_e32 vcc_lo, 0, v10
	s_and_b32 s47, vcc_lo, exec_lo
	s_delay_alu instid0(SALU_CYCLE_1)
	s_or_b32 s46, s46, s47
	s_mov_b32 s56, -1
	s_or_b32 s44, s44, exec_lo
	s_and_saveexec_b32 s47, s46
	s_cbranch_execz .LBB8_406
.LBB8_410:                              ;   in Loop: Header=BB8_407 Depth=2
	s_sleep 1
	s_trap 2
	ds_load_b64 v[10:11], v0
	s_wait_dscnt 0x0
	s_and_not1_b32 s44, s44, exec_lo
	v_cmp_ge_u64_e32 vcc_lo, v[10:11], v[26:27]
	s_or_not1_b32 s56, vcc_lo, exec_lo
	s_branch .LBB8_406
.LBB8_411:                              ;   in Loop: Header=BB8_77 Depth=1
	s_or_b32 exec_lo, exec_lo, s20
	s_and_saveexec_b32 s20, s21
	s_delay_alu instid0(SALU_CYCLE_1)
	s_xor_b32 s20, exec_lo, s20
	s_cbranch_execz .LBB8_413
; %bb.412:                              ;   in Loop: Header=BB8_77 Depth=1
	ds_store_b32 v0, v116
	s_trap 2
.LBB8_413:                              ;   in Loop: Header=BB8_77 Depth=1
	s_or_b32 exec_lo, exec_lo, s19
	;;#ASMSTART
	s_wakeup
	;;#ASMEND
.LBB8_414:                              ;   in Loop: Header=BB8_77 Depth=1
	s_or_b32 exec_lo, exec_lo, s18
.LBB8_415:                              ;   in Loop: Header=BB8_77 Depth=1
	s_and_not1_saveexec_b32 s17, s17
	s_cbranch_execz .LBB8_417
; %bb.416:                              ;   in Loop: Header=BB8_77 Depth=1
	;;#ASMSTART
	s_waitcnt lgkmcnt(0) vmcnt(0)
	;;#ASMEND
	s_barrier_signal -1
	s_barrier_wait -1
.LBB8_417:                              ;   in Loop: Header=BB8_77 Depth=1
	s_or_b32 exec_lo, exec_lo, s17
	v_and_b32_e32 v10, 16, v114
.LBB8_418:                              ;   in Loop: Header=BB8_77 Depth=1
	s_or_b32 exec_lo, exec_lo, s16
	s_delay_alu instid0(VALU_DEP_1) | instskip(SKIP_1) | instid1(SALU_CYCLE_1)
	v_cmp_ne_u32_e32 vcc_lo, 0, v10
	s_xor_b32 s16, s5, -1
	s_and_b32 s17, vcc_lo, s16
	s_delay_alu instid0(SALU_CYCLE_1)
	s_and_saveexec_b32 s16, s17
	s_cbranch_execz .LBB8_420
; %bb.419:                              ;   in Loop: Header=BB8_77 Depth=1
	global_wb scope:SCOPE_SYS
	s_wait_storecnt 0x0
	s_wait_loadcnt_dscnt 0x0
	flat_store_b32 v[28:29], v116 scope:SCOPE_SYS
.LBB8_420:                              ;   in Loop: Header=BB8_77 Depth=1
	s_wait_xcnt 0x0
	s_or_b32 exec_lo, exec_lo, s16
	v_and_b32_e32 v10, 48, v114
	s_mov_b32 s16, exec_lo
	s_delay_alu instid0(VALU_DEP_1)
	v_cmpx_ne_u32_e32 0, v10
	s_cbranch_execz .LBB8_422
; %bb.421:                              ;   in Loop: Header=BB8_77 Depth=1
	v_add_nc_u64_e32 v[8:9], 1, v[8:9]
	global_wb scope:SCOPE_SYS
	s_wait_storecnt 0x0
	s_wait_loadcnt_dscnt 0x0
	flat_store_b64 v[20:21], v[8:9] scope:SCOPE_SYS
.LBB8_422:                              ;   in Loop: Header=BB8_77 Depth=1
	s_wait_xcnt 0x0
	s_or_b32 exec_lo, exec_lo, s16
	v_mov_b32_e32 v12, v84
.LBB8_423:                              ;   in Loop: Header=BB8_77 Depth=1
	s_or_b32 exec_lo, exec_lo, s42
	s_mov_b32 s16, 0
	s_and_saveexec_b32 s17, s14
	s_cbranch_execz .LBB8_565
; %bb.424:                              ;   in Loop: Header=BB8_77 Depth=1
	v_dual_sub_nc_u32 v10, v40, v12 :: v_dual_bitop2_b32 v11, 12, v114 bitop3:0x40
	s_mov_b32 s18, exec_lo
	s_delay_alu instid0(VALU_DEP_1) | instskip(NEXT) | instid1(VALU_DEP_2)
	v_min_i32_e32 v10, v84, v10
	v_cmpx_ne_u32_e32 0, v11
	s_cbranch_execz .LBB8_434
; %bb.425:                              ;   in Loop: Header=BB8_77 Depth=1
	v_and_b32_e32 v34, 8, v114
	v_add_nc_u64_e32 v[12:13], 1, v[8:9]
	s_mov_b32 s19, exec_lo
	s_wait_loadcnt_dscnt 0x1
	s_delay_alu instid0(VALU_DEP_2) | instskip(NEXT) | instid1(VALU_DEP_1)
	v_add_nc_u64_e32 v[84:85], v[32:33], v[34:35]
	v_cmpx_lt_u64_e64 v[84:85], v[12:13]
	s_cbranch_execz .LBB8_442
; %bb.426:                              ;   in Loop: Header=BB8_77 Depth=1
	v_and_b32_e32 v9, 64, v114
	s_mov_b32 s20, 0
	s_mov_b32 s44, 0
                                        ; implicit-def: $sgpr21
                                        ; implicit-def: $sgpr42
                                        ; implicit-def: $sgpr43
	s_delay_alu instid0(VALU_DEP_1)
	v_cmp_eq_u32_e32 vcc_lo, 0, v9
	s_branch .LBB8_430
.LBB8_427:                              ;   in Loop: Header=BB8_430 Depth=2
	s_wait_loadcnt_dscnt 0x0
	v_add_nc_u64_e32 v[84:85], v[32:33], v[34:35]
	s_or_b32 s47, s47, exec_lo
	s_delay_alu instid0(VALU_DEP_1)
	v_cmp_ge_u64_e64 s16, v[84:85], v[12:13]
	s_or_not1_b32 s46, s16, exec_lo
.LBB8_428:                              ;   in Loop: Header=BB8_430 Depth=2
	s_or_b32 exec_lo, exec_lo, s57
	s_delay_alu instid0(SALU_CYCLE_1)
	s_and_not1_b32 s16, s43, exec_lo
	s_and_b32 s43, s47, exec_lo
	s_and_not1_b32 s42, s42, exec_lo
	s_and_b32 s46, s46, exec_lo
	s_or_b32 s43, s16, s43
	s_or_b32 s42, s42, s46
.LBB8_429:                              ;   in Loop: Header=BB8_430 Depth=2
	s_or_b32 exec_lo, exec_lo, s45
	s_delay_alu instid0(SALU_CYCLE_1) | instskip(NEXT) | instid1(SALU_CYCLE_1)
	s_and_b32 s16, exec_lo, s42
	s_or_b32 s20, s16, s20
	s_and_not1_b32 s16, s21, exec_lo
	s_and_b32 s21, s43, exec_lo
	s_delay_alu instid0(SALU_CYCLE_1)
	s_or_b32 s21, s16, s21
	s_and_not1_b32 exec_lo, exec_lo, s20
	s_cbranch_execz .LBB8_439
.LBB8_430:                              ;   Parent Loop BB8_77 Depth=1
                                        ; =>  This Inner Loop Header: Depth=2
	s_sleep 1
	s_wait_loadcnt_dscnt 0x0
	flat_load_b64 v[32:33], v[20:21] scope:SCOPE_SYS
	s_or_b32 s43, s43, exec_lo
	s_or_b32 s42, s42, exec_lo
                                        ; implicit-def: $vgpr9
	s_wait_xcnt 0x0
	s_and_saveexec_b32 s45, vcc_lo
	s_cbranch_execz .LBB8_429
; %bb.431:                              ;   in Loop: Header=BB8_430 Depth=2
	s_cmp_lt_i32 s44, 0x270f
	s_mov_b32 s46, -1
	s_cselect_b32 s56, -1, 0
	s_cmp_gt_i32 s44, 0x270e
	s_cbranch_scc0 .LBB8_433
; %bb.432:                              ;   in Loop: Header=BB8_430 Depth=2
	s_trap 2
	ds_load_b64 v[84:85], v0
	s_and_not1_b32 s44, s56, exec_lo
	s_mov_b32 s47, 0
	s_wait_storecnt 0x0
	s_wait_loadcnt_dscnt 0x0
	flat_load_b32 v9, v[84:85] scope:SCOPE_SYS
	s_wait_loadcnt_dscnt 0x0
	global_inv scope:SCOPE_SYS
	v_cmp_eq_u32_e64 s16, 0, v9
	s_and_b32 s16, s16, exec_lo
	s_delay_alu instid0(SALU_CYCLE_1)
	s_or_b32 s56, s44, s16
	s_mov_b32 s44, 0
	s_and_saveexec_b32 s57, s56
	s_cbranch_execz .LBB8_428
	s_branch .LBB8_427
.LBB8_433:                              ;   in Loop: Header=BB8_430 Depth=2
	s_add_co_i32 s44, s44, 1
	s_mov_b32 s47, -1
                                        ; implicit-def: $vgpr9
	s_and_saveexec_b32 s57, s56
	s_cbranch_execz .LBB8_428
	s_branch .LBB8_427
.LBB8_434:                              ;   in Loop: Header=BB8_77 Depth=1
	s_or_b32 exec_lo, exec_lo, s18
	s_and_saveexec_b32 s16, s3
	s_cbranch_execnz .LBB8_455
.LBB8_435:                              ;   in Loop: Header=BB8_77 Depth=1
	s_or_b32 exec_lo, exec_lo, s16
                                        ; implicit-def: $vgpr11
	s_and_saveexec_b32 s16, s12
	s_delay_alu instid0(SALU_CYCLE_1)
	s_xor_b32 s18, exec_lo, s16
	s_cbranch_execz .LBB8_524
.LBB8_436:                              ;   in Loop: Header=BB8_77 Depth=1
	s_trap 2
	ds_load_b32 v11, v0
	v_cmp_lt_i32_e32 vcc_lo, 0, v10
	s_wait_dscnt 0x0
	v_readfirstlane_b32 s16, v11
	v_and_b32_e32 v11, 16, v114
	s_cmp_eq_u32 s16, 0
	s_delay_alu instid0(VALU_DEP_1) | instskip(SKIP_3) | instid1(SALU_CYCLE_1)
	v_cmp_ne_u32_e64 s16, 0, v11
	s_cselect_b32 s19, -1, 0
	v_and_b32_e32 v11, 16, v114
	s_and_b32 s19, vcc_lo, s19
	s_and_b32 s19, s16, s19
	s_delay_alu instid0(SALU_CYCLE_1)
	s_and_saveexec_b32 s16, s19
	s_cbranch_execz .LBB8_438
; %bb.437:                              ;   in Loop: Header=BB8_77 Depth=1
	v_mov_b32_e32 v11, 1
	global_wb scope:SCOPE_SYS
	s_wait_loadcnt 0x0
	s_wait_storecnt 0x0
	global_inv scope:SCOPE_SYS
.LBB8_438:                              ;   in Loop: Header=BB8_77 Depth=1
	s_or_b32 exec_lo, exec_lo, s16
	s_and_not1_saveexec_b32 s16, s18
	s_cbranch_execz .LBB8_562
	s_branch .LBB8_525
.LBB8_439:                              ;   in Loop: Header=BB8_77 Depth=1
	s_or_b32 exec_lo, exec_lo, s20
	s_xor_b32 s16, s21, -1
	s_delay_alu instid0(SALU_CYCLE_1) | instskip(NEXT) | instid1(SALU_CYCLE_1)
	s_and_saveexec_b32 s20, s16
	s_xor_b32 s16, exec_lo, s20
	s_cbranch_execz .LBB8_441
; %bb.440:                              ;   in Loop: Header=BB8_77 Depth=1
	v_or_b32_e32 v114, 64, v114
	s_wait_storecnt 0x0
	s_wait_loadcnt_dscnt 0x0
	ds_store_b32 v0, v9
	s_trap 2
.LBB8_441:                              ;   in Loop: Header=BB8_77 Depth=1
	s_or_b32 exec_lo, exec_lo, s16
.LBB8_442:                              ;   in Loop: Header=BB8_77 Depth=1
	s_delay_alu instid0(SALU_CYCLE_1) | instskip(SKIP_3) | instid1(VALU_DEP_1)
	s_or_b32 exec_lo, exec_lo, s19
	v_and_b32_e32 v9, 0x108, v114
	s_mov_b32 s16, exec_lo
	;;#ASMSTART
	s_wakeup
	;;#ASMEND
                                        ; implicit-def: $vgpr84_vgpr85
	v_cmpx_ne_u32_e32 0x108, v9
	s_xor_b32 s16, exec_lo, s16
; %bb.443:                              ;   in Loop: Header=BB8_77 Depth=1
	v_dual_mov_b32 v85, v35 :: v_dual_bitop2_b32 v84, 7, v8 bitop3:0x40
; %bb.444:                              ;   in Loop: Header=BB8_77 Depth=1
	s_and_not1_saveexec_b32 s16, s16
	s_cbranch_execz .LBB8_446
; %bb.445:                              ;   in Loop: Header=BB8_77 Depth=1
	v_dual_ashrrev_i32 v11, 31, v10 :: v_dual_bitop2_b32 v84, 7, v8 bitop3:0x40
	v_mov_b32_e32 v85, v35
	s_delay_alu instid0(VALU_DEP_2)
	v_mad_nc_u64_u32 v[8:9], v84, 24, v[6:7]
	flat_store_b64 v[8:9], v[10:11] offset:8
.LBB8_446:                              ;   in Loop: Header=BB8_77 Depth=1
	s_wait_xcnt 0x0
	s_or_b32 exec_lo, exec_lo, s16
	v_and_b32_e32 v8, 0x100, v114
	s_mov_b32 s16, -1
	s_delay_alu instid0(VALU_DEP_1)
	v_cmp_ne_u32_e32 vcc_lo, 0, v8
                                        ; implicit-def: $vgpr8_vgpr9
	s_and_saveexec_b32 s19, vcc_lo
	s_cbranch_execz .LBB8_450
; %bb.447:                              ;   in Loop: Header=BB8_77 Depth=1
	v_mad_nc_u64_u32 v[86:87], v84, 24, v[6:7]
	s_delay_alu instid0(VALU_DEP_1)
	v_mad_u32 v87, v85, 24, v87
	flat_load_b32 v8, v[86:87]
	s_wait_loadcnt_dscnt 0x0
	v_cmp_eq_u32_e64 s16, 1, v8
	v_cmp_ne_u32_e32 vcc_lo, 1, v8
                                        ; implicit-def: $vgpr8_vgpr9
	s_wait_xcnt 0x0
	s_and_saveexec_b32 s20, s16
	s_cbranch_execz .LBB8_449
; %bb.448:                              ;   in Loop: Header=BB8_77 Depth=1
	flat_load_b32 v8, v[86:87] offset:4 scope:SCOPE_SYS
	s_wait_loadcnt_dscnt 0x0
	v_ashrrev_i32_e32 v9, 31, v8
.LBB8_449:                              ;   in Loop: Header=BB8_77 Depth=1
	s_wait_xcnt 0x0
	s_or_b32 exec_lo, exec_lo, s20
	s_delay_alu instid0(SALU_CYCLE_1)
	s_or_not1_b32 s16, vcc_lo, exec_lo
.LBB8_450:                              ;   in Loop: Header=BB8_77 Depth=1
	s_or_b32 exec_lo, exec_lo, s19
	s_and_saveexec_b32 s19, s16
; %bb.451:                              ;   in Loop: Header=BB8_77 Depth=1
	v_mul_u64_e32 v[8:9], v[84:85], v[22:23]
; %bb.452:                              ;   in Loop: Header=BB8_77 Depth=1
	s_or_b32 exec_lo, exec_lo, s19
	v_cmp_eq_u32_e32 vcc_lo, 0, v34
	s_delay_alu instid0(VALU_DEP_2) | instskip(SKIP_3) | instid1(VALU_DEP_1)
	v_add_nc_u64_e32 v[8:9], v[24:25], v[8:9]
	v_and_b32_e32 v34, 0x2000, v114
	s_mov_b32 s16, exec_lo
	v_cndmask_b32_e32 v11, 0xd0, v117, vcc_lo
	v_add_nc_u32_e32 v11, v0, v11
	ds_store_b64 v11, v[8:9] offset:584
	v_cmpx_ne_u32_e32 0, v34
	s_cbranch_execz .LBB8_454
; %bb.453:                              ;   in Loop: Header=BB8_77 Depth=1
	ds_load_b64 v[8:9], v0 offset:872
	s_wait_dscnt 0x0
	v_add_nc_u64_e32 v[8:9], 1, v[8:9]
	ds_store_b64 v0, v[8:9] offset:872
.LBB8_454:                              ;   in Loop: Header=BB8_77 Depth=1
	s_or_b32 exec_lo, exec_lo, s16
	v_mov_b64_e32 v[8:9], v[12:13]
	s_or_b32 exec_lo, exec_lo, s18
	s_and_saveexec_b32 s16, s3
	s_cbranch_execz .LBB8_435
.LBB8_455:                              ;   in Loop: Header=BB8_77 Depth=1
	s_and_saveexec_b32 s18, s4
	s_delay_alu instid0(SALU_CYCLE_1)
	s_xor_b32 s18, exec_lo, s18
	s_cbranch_execz .LBB8_521
; %bb.456:                              ;   in Loop: Header=BB8_77 Depth=1
	s_and_saveexec_b32 s19, s7
	s_cbranch_execz .LBB8_520
; %bb.457:                              ;   in Loop: Header=BB8_77 Depth=1
	s_mov_b32 s21, exec_lo
	s_mov_b32 s20, exec_lo
	v_mbcnt_lo_u32_b32 v11, s21, 0
	global_wb scope:SCOPE_DEV
	s_wait_storecnt 0x0
	s_wait_loadcnt_dscnt 0x0
	global_inv scope:SCOPE_DEV
	v_cmpx_eq_u32_e32 0, v11
	s_cbranch_execz .LBB8_459
; %bb.458:                              ;   in Loop: Header=BB8_77 Depth=1
	s_bcnt1_i32_b32 s21, s21
	s_delay_alu instid0(SALU_CYCLE_1)
	v_mov_b32_e32 v34, s21
	s_wait_loadcnt 0x0
	ds_add_u64 v0, v[34:35]
	s_trap 2
.LBB8_459:                              ;   in Loop: Header=BB8_77 Depth=1
	s_or_b32 exec_lo, exec_lo, s20
	s_trap 2
	ds_load_b64 v[12:13], v0
	s_wait_dscnt 0x0
	v_add_nc_u64_e32 v[26:27], v[26:27], v[36:37]
	s_mov_b32 s20, exec_lo
	s_delay_alu instid0(VALU_DEP_1)
	v_cmpx_lt_u64_e64 v[12:13], v[26:27]
	s_cbranch_execz .LBB8_519
; %bb.460:                              ;   in Loop: Header=BB8_77 Depth=1
	s_mov_b32 s21, 0
	s_mov_b32 s44, 0
                                        ; implicit-def: $sgpr42
                                        ; implicit-def: $sgpr43
	s_branch .LBB8_462
.LBB8_461:                              ;   in Loop: Header=BB8_462 Depth=2
	s_or_b32 exec_lo, exec_lo, s46
	s_delay_alu instid0(SALU_CYCLE_1) | instskip(NEXT) | instid1(SALU_CYCLE_1)
	s_and_b32 s45, exec_lo, s47
	s_or_b32 s21, s45, s21
	s_and_not1_b32 s42, s42, exec_lo
	s_and_b32 s45, s43, exec_lo
	s_delay_alu instid0(SALU_CYCLE_1)
	s_or_b32 s42, s42, s45
	s_and_not1_b32 exec_lo, exec_lo, s21
	s_cbranch_execz .LBB8_517
.LBB8_462:                              ;   Parent Loop BB8_77 Depth=1
                                        ; =>  This Inner Loop Header: Depth=2
	s_add_co_i32 s44, s44, 1
	s_delay_alu instid0(SALU_CYCLE_1) | instskip(SKIP_1) | instid1(SALU_CYCLE_1)
	s_cmp_lg_u32 s44, 0x2710
	s_cselect_b32 s45, -1, 0
	s_and_b32 vcc_lo, exec_lo, s45
	s_cbranch_vccz .LBB8_464
; %bb.463:                              ;   in Loop: Header=BB8_462 Depth=2
	s_mov_b32 s47, -1
	s_or_b32 s43, s43, exec_lo
	s_and_saveexec_b32 s46, s45
	s_cbranch_execz .LBB8_461
	s_branch .LBB8_465
.LBB8_464:                              ;   in Loop: Header=BB8_462 Depth=2
	s_trap 2
	ds_load_b64 v[12:13], v0
	s_and_not1_b32 s45, s45, exec_lo
	s_mov_b32 s44, 0
	s_wait_loadcnt_dscnt 0x0
	flat_load_b32 v11, v[12:13] scope:SCOPE_SYS
	s_wait_loadcnt_dscnt 0x0
	global_inv scope:SCOPE_SYS
	v_cmp_eq_u32_e32 vcc_lo, 0, v11
	s_and_b32 s46, vcc_lo, exec_lo
	s_delay_alu instid0(SALU_CYCLE_1)
	s_or_b32 s45, s45, s46
	s_mov_b32 s47, -1
	s_or_b32 s43, s43, exec_lo
	s_and_saveexec_b32 s46, s45
	s_cbranch_execz .LBB8_461
.LBB8_465:                              ;   in Loop: Header=BB8_462 Depth=2
	s_sleep 1
	s_trap 2
	ds_load_b64 v[12:13], v0
	s_wait_dscnt 0x0
	s_and_not1_b32 s43, s43, exec_lo
	v_cmp_ge_u64_e32 vcc_lo, v[12:13], v[26:27]
	s_or_not1_b32 s47, vcc_lo, exec_lo
	s_branch .LBB8_461
.LBB8_466:                              ;   in Loop: Header=BB8_77 Depth=1
	s_or_b32 exec_lo, exec_lo, s20
	s_and_saveexec_b32 s20, s21
	s_delay_alu instid0(SALU_CYCLE_1)
	s_xor_b32 s20, exec_lo, s20
	s_cbranch_execz .LBB8_468
; %bb.467:                              ;   in Loop: Header=BB8_77 Depth=1
	ds_store_b32 v0, v116
	s_trap 2
.LBB8_468:                              ;   in Loop: Header=BB8_77 Depth=1
	s_or_b32 exec_lo, exec_lo, s19
	;;#ASMSTART
	s_wakeup
	;;#ASMEND
.LBB8_469:                              ;   in Loop: Header=BB8_77 Depth=1
	s_or_b32 exec_lo, exec_lo, s18
.LBB8_470:                              ;   in Loop: Header=BB8_77 Depth=1
	s_and_not1_saveexec_b32 s17, s17
	s_cbranch_execz .LBB8_472
; %bb.471:                              ;   in Loop: Header=BB8_77 Depth=1
	;;#ASMSTART
	s_waitcnt lgkmcnt(0) vmcnt(0)
	;;#ASMEND
	s_barrier_signal -1
	s_barrier_wait -1
.LBB8_472:                              ;   in Loop: Header=BB8_77 Depth=1
	s_or_b32 exec_lo, exec_lo, s17
	v_and_b32_e32 v10, 16, v114
.LBB8_473:                              ;   in Loop: Header=BB8_77 Depth=1
	s_or_b32 exec_lo, exec_lo, s16
	s_delay_alu instid0(SALU_CYCLE_1) | instskip(NEXT) | instid1(VALU_DEP_1)
	s_mov_b32 s16, exec_lo
	v_cmpx_ne_u32_e32 0, v10
	s_cbranch_execz .LBB8_477
; %bb.474:                              ;   in Loop: Header=BB8_77 Depth=1
	s_and_saveexec_b32 s17, s6
	s_cbranch_execz .LBB8_476
; %bb.475:                              ;   in Loop: Header=BB8_77 Depth=1
	global_wb scope:SCOPE_SYS
	s_wait_storecnt 0x0
	s_wait_loadcnt_dscnt 0x0
	flat_store_b32 v[28:29], v116 scope:SCOPE_SYS
.LBB8_476:                              ;   in Loop: Header=BB8_77 Depth=1
	s_wait_xcnt 0x0
	s_or_b32 exec_lo, exec_lo, s17
	v_add_nc_u64_e32 v[8:9], 1, v[8:9]
	global_wb scope:SCOPE_SYS
	s_wait_storecnt 0x0
	s_wait_loadcnt_dscnt 0x0
	flat_store_b64 v[20:21], v[8:9] scope:SCOPE_SYS
.LBB8_477:                              ;   in Loop: Header=BB8_77 Depth=1
	s_wait_xcnt 0x0
	s_or_b32 exec_lo, exec_lo, s16
	v_mov_b32_e32 v12, v84
.LBB8_478:                              ;   in Loop: Header=BB8_77 Depth=1
	s_or_b32 exec_lo, exec_lo, s43
	s_mov_b32 s18, 0
	s_mov_b32 s16, s40
	s_and_saveexec_b32 s17, s14
	s_cbranch_execz .LBB8_614
; %bb.479:                              ;   in Loop: Header=BB8_77 Depth=1
	v_dual_sub_nc_u32 v10, v40, v12 :: v_dual_bitop2_b32 v11, 8, v114 bitop3:0x40
	s_mov_b32 s18, exec_lo
	s_delay_alu instid0(VALU_DEP_1) | instskip(NEXT) | instid1(VALU_DEP_2)
	v_min_i32_e32 v10, v84, v10
	v_cmpx_ne_u32_e32 0, v11
	s_cbranch_execz .LBB8_489
; %bb.480:                              ;   in Loop: Header=BB8_77 Depth=1
	s_wait_loadcnt_dscnt 0x1
	v_add_nc_u64_e32 v[84:85], 8, v[32:33]
	v_add_nc_u64_e32 v[12:13], 1, v[8:9]
	s_mov_b32 s19, exec_lo
	s_delay_alu instid0(VALU_DEP_1)
	v_cmpx_lt_u64_e64 v[84:85], v[12:13]
	s_cbranch_execz .LBB8_497
; %bb.481:                              ;   in Loop: Header=BB8_77 Depth=1
	v_and_b32_e32 v9, 64, v114
	s_mov_b32 s20, 0
	s_mov_b32 s45, 0
                                        ; implicit-def: $sgpr21
                                        ; implicit-def: $sgpr43
                                        ; implicit-def: $sgpr44
	s_delay_alu instid0(VALU_DEP_1)
	v_cmp_eq_u32_e32 vcc_lo, 0, v9
	s_branch .LBB8_485
.LBB8_482:                              ;   in Loop: Header=BB8_485 Depth=2
	s_wait_loadcnt_dscnt 0x0
	v_add_nc_u64_e32 v[84:85], 8, v[32:33]
	s_or_b32 s56, s56, exec_lo
	s_delay_alu instid0(VALU_DEP_1)
	v_cmp_ge_u64_e64 s16, v[84:85], v[12:13]
	s_or_not1_b32 s47, s16, exec_lo
.LBB8_483:                              ;   in Loop: Header=BB8_485 Depth=2
	s_or_b32 exec_lo, exec_lo, s58
	s_delay_alu instid0(SALU_CYCLE_1)
	s_and_not1_b32 s16, s44, exec_lo
	s_and_b32 s44, s56, exec_lo
	s_and_not1_b32 s43, s43, exec_lo
	s_and_b32 s47, s47, exec_lo
	s_or_b32 s44, s16, s44
	s_or_b32 s43, s43, s47
.LBB8_484:                              ;   in Loop: Header=BB8_485 Depth=2
	s_or_b32 exec_lo, exec_lo, s46
	s_delay_alu instid0(SALU_CYCLE_1) | instskip(NEXT) | instid1(SALU_CYCLE_1)
	s_and_b32 s16, exec_lo, s43
	s_or_b32 s20, s16, s20
	s_and_not1_b32 s16, s21, exec_lo
	s_and_b32 s21, s44, exec_lo
	s_delay_alu instid0(SALU_CYCLE_1)
	s_or_b32 s21, s16, s21
	s_and_not1_b32 exec_lo, exec_lo, s20
	s_cbranch_execz .LBB8_494
.LBB8_485:                              ;   Parent Loop BB8_77 Depth=1
                                        ; =>  This Inner Loop Header: Depth=2
	s_sleep 1
	s_wait_loadcnt_dscnt 0x0
	flat_load_b64 v[32:33], v[20:21] scope:SCOPE_SYS
	s_or_b32 s44, s44, exec_lo
	s_or_b32 s43, s43, exec_lo
                                        ; implicit-def: $vgpr9
	s_wait_xcnt 0x0
	s_and_saveexec_b32 s46, vcc_lo
	s_cbranch_execz .LBB8_484
; %bb.486:                              ;   in Loop: Header=BB8_485 Depth=2
	s_cmp_lt_i32 s45, 0x270f
	s_mov_b32 s47, -1
	s_cselect_b32 s57, -1, 0
	s_cmp_gt_i32 s45, 0x270e
	s_cbranch_scc0 .LBB8_488
; %bb.487:                              ;   in Loop: Header=BB8_485 Depth=2
	s_trap 2
	ds_load_b64 v[84:85], v0
	s_and_not1_b32 s45, s57, exec_lo
	s_mov_b32 s56, 0
	s_wait_storecnt 0x0
	s_wait_loadcnt_dscnt 0x0
	flat_load_b32 v9, v[84:85] scope:SCOPE_SYS
	s_wait_loadcnt_dscnt 0x0
	global_inv scope:SCOPE_SYS
	v_cmp_eq_u32_e64 s16, 0, v9
	s_and_b32 s16, s16, exec_lo
	s_delay_alu instid0(SALU_CYCLE_1)
	s_or_b32 s57, s45, s16
	s_mov_b32 s45, 0
	s_and_saveexec_b32 s58, s57
	s_cbranch_execz .LBB8_483
	s_branch .LBB8_482
.LBB8_488:                              ;   in Loop: Header=BB8_485 Depth=2
	s_add_co_i32 s45, s45, 1
	s_mov_b32 s56, -1
                                        ; implicit-def: $vgpr9
	s_and_saveexec_b32 s58, s57
	s_cbranch_execz .LBB8_483
	s_branch .LBB8_482
.LBB8_489:                              ;   in Loop: Header=BB8_77 Depth=1
	s_or_b32 exec_lo, exec_lo, s18
	s_and_saveexec_b32 s16, s3
	s_cbranch_execnz .LBB8_506
.LBB8_490:                              ;   in Loop: Header=BB8_77 Depth=1
	s_or_b32 exec_lo, exec_lo, s16
                                        ; implicit-def: $vgpr11
	s_and_saveexec_b32 s16, s12
	s_delay_alu instid0(SALU_CYCLE_1)
	s_xor_b32 s18, exec_lo, s16
	s_cbranch_execz .LBB8_543
.LBB8_491:                              ;   in Loop: Header=BB8_77 Depth=1
	s_trap 2
	ds_load_b32 v11, v0
	v_cmp_lt_i32_e32 vcc_lo, 0, v10
	s_wait_dscnt 0x0
	v_readfirstlane_b32 s16, v11
	v_and_b32_e32 v11, 16, v114
	s_cmp_eq_u32 s16, 0
	s_delay_alu instid0(VALU_DEP_1) | instskip(SKIP_3) | instid1(SALU_CYCLE_1)
	v_cmp_ne_u32_e64 s16, 0, v11
	s_cselect_b32 s19, -1, 0
	v_and_b32_e32 v11, 16, v114
	s_and_b32 s19, vcc_lo, s19
	s_and_b32 s19, s16, s19
	s_delay_alu instid0(SALU_CYCLE_1)
	s_and_saveexec_b32 s16, s19
	s_cbranch_execz .LBB8_493
; %bb.492:                              ;   in Loop: Header=BB8_77 Depth=1
	v_mov_b32_e32 v11, 1
	global_wb scope:SCOPE_SYS
	s_wait_loadcnt 0x0
	s_wait_storecnt 0x0
	global_inv scope:SCOPE_SYS
.LBB8_493:                              ;   in Loop: Header=BB8_77 Depth=1
	s_or_b32 exec_lo, exec_lo, s16
	s_and_not1_saveexec_b32 s16, s18
	s_cbranch_execz .LBB8_611
	s_branch .LBB8_544
.LBB8_494:                              ;   in Loop: Header=BB8_77 Depth=1
	s_or_b32 exec_lo, exec_lo, s20
	s_xor_b32 s16, s21, -1
	s_delay_alu instid0(SALU_CYCLE_1) | instskip(NEXT) | instid1(SALU_CYCLE_1)
	s_and_saveexec_b32 s20, s16
	s_xor_b32 s16, exec_lo, s20
	s_cbranch_execz .LBB8_496
; %bb.495:                              ;   in Loop: Header=BB8_77 Depth=1
	v_or_b32_e32 v114, 64, v114
	s_wait_storecnt 0x0
	s_wait_loadcnt_dscnt 0x0
	ds_store_b32 v0, v9
	s_trap 2
.LBB8_496:                              ;   in Loop: Header=BB8_77 Depth=1
	s_or_b32 exec_lo, exec_lo, s16
.LBB8_497:                              ;   in Loop: Header=BB8_77 Depth=1
	s_delay_alu instid0(SALU_CYCLE_1) | instskip(SKIP_4) | instid1(VALU_DEP_2)
	s_or_b32 exec_lo, exec_lo, s19
	v_and_b32_e32 v9, 0x100, v114
	v_and_b32_e32 v34, 7, v8
	s_mov_b32 s16, -1
	;;#ASMSTART
	s_wakeup
	;;#ASMEND
	v_cmp_ne_u32_e32 vcc_lo, 0, v9
                                        ; implicit-def: $vgpr8_vgpr9
	s_and_saveexec_b32 s19, vcc_lo
	s_cbranch_execz .LBB8_501
; %bb.498:                              ;   in Loop: Header=BB8_77 Depth=1
	v_mad_nc_u64_u32 v[84:85], v34, 24, v[6:7]
	v_ashrrev_i32_e32 v11, 31, v10
	s_clause 0x1
	flat_load_b32 v8, v[84:85]
	flat_store_b64 v[84:85], v[10:11] offset:8
	s_wait_loadcnt_dscnt 0x1
	v_cmp_eq_u32_e64 s16, 1, v8
	v_cmp_ne_u32_e32 vcc_lo, 1, v8
                                        ; implicit-def: $vgpr8_vgpr9
	s_wait_xcnt 0x0
	s_and_saveexec_b32 s20, s16
	s_cbranch_execz .LBB8_500
; %bb.499:                              ;   in Loop: Header=BB8_77 Depth=1
	flat_load_b32 v8, v[84:85] offset:4 scope:SCOPE_SYS
	s_wait_loadcnt_dscnt 0x0
	v_ashrrev_i32_e32 v9, 31, v8
.LBB8_500:                              ;   in Loop: Header=BB8_77 Depth=1
	s_wait_xcnt 0x0
	s_or_b32 exec_lo, exec_lo, s20
	s_delay_alu instid0(SALU_CYCLE_1)
	s_or_not1_b32 s16, vcc_lo, exec_lo
.LBB8_501:                              ;   in Loop: Header=BB8_77 Depth=1
	s_or_b32 exec_lo, exec_lo, s19
	s_and_saveexec_b32 s19, s16
; %bb.502:                              ;   in Loop: Header=BB8_77 Depth=1
	v_mul_u64_e32 v[8:9], v[34:35], v[22:23]
; %bb.503:                              ;   in Loop: Header=BB8_77 Depth=1
	s_or_b32 exec_lo, exec_lo, s19
	s_delay_alu instid0(VALU_DEP_1)
	v_add_nc_u64_e32 v[8:9], v[24:25], v[8:9]
	v_and_b32_e32 v11, 0x2000, v114
	s_mov_b32 s16, exec_lo
	ds_store_b64 v0, v[8:9] offset:792
	v_cmpx_ne_u32_e32 0, v11
	s_cbranch_execz .LBB8_505
; %bb.504:                              ;   in Loop: Header=BB8_77 Depth=1
	ds_load_b64 v[8:9], v0 offset:872
	s_wait_dscnt 0x0
	v_add_nc_u64_e32 v[8:9], 1, v[8:9]
	ds_store_b64 v0, v[8:9] offset:872
.LBB8_505:                              ;   in Loop: Header=BB8_77 Depth=1
	s_or_b32 exec_lo, exec_lo, s16
	v_mov_b64_e32 v[8:9], v[12:13]
	s_or_b32 exec_lo, exec_lo, s18
	s_and_saveexec_b32 s16, s3
	s_cbranch_execz .LBB8_490
.LBB8_506:                              ;   in Loop: Header=BB8_77 Depth=1
	s_and_saveexec_b32 s18, s4
	s_delay_alu instid0(SALU_CYCLE_1)
	s_xor_b32 s18, exec_lo, s18
	s_cbranch_execz .LBB8_540
; %bb.507:                              ;   in Loop: Header=BB8_77 Depth=1
	s_and_saveexec_b32 s19, s7
	s_cbranch_execz .LBB8_539
; %bb.508:                              ;   in Loop: Header=BB8_77 Depth=1
	s_mov_b32 s21, exec_lo
	s_mov_b32 s20, exec_lo
	v_mbcnt_lo_u32_b32 v11, s21, 0
	global_wb scope:SCOPE_DEV
	s_wait_storecnt 0x0
	s_wait_loadcnt_dscnt 0x0
	global_inv scope:SCOPE_DEV
	v_cmpx_eq_u32_e32 0, v11
	s_cbranch_execz .LBB8_510
; %bb.509:                              ;   in Loop: Header=BB8_77 Depth=1
	s_bcnt1_i32_b32 s21, s21
	s_delay_alu instid0(SALU_CYCLE_1)
	v_mov_b32_e32 v34, s21
	s_wait_loadcnt 0x0
	ds_add_u64 v0, v[34:35]
	s_trap 2
.LBB8_510:                              ;   in Loop: Header=BB8_77 Depth=1
	s_or_b32 exec_lo, exec_lo, s20
	s_trap 2
	ds_load_b64 v[12:13], v0
	s_wait_dscnt 0x0
	v_add_nc_u64_e32 v[26:27], v[26:27], v[36:37]
	s_mov_b32 s20, exec_lo
	s_delay_alu instid0(VALU_DEP_1)
	v_cmpx_lt_u64_e64 v[12:13], v[26:27]
	s_cbranch_execz .LBB8_538
; %bb.511:                              ;   in Loop: Header=BB8_77 Depth=1
	s_mov_b32 s21, 0
	s_mov_b32 s45, 0
                                        ; implicit-def: $sgpr43
                                        ; implicit-def: $sgpr44
	s_branch .LBB8_513
.LBB8_512:                              ;   in Loop: Header=BB8_513 Depth=2
	s_or_b32 exec_lo, exec_lo, s47
	s_delay_alu instid0(SALU_CYCLE_1) | instskip(NEXT) | instid1(SALU_CYCLE_1)
	s_and_b32 s46, exec_lo, s56
	s_or_b32 s21, s46, s21
	s_and_not1_b32 s43, s43, exec_lo
	s_and_b32 s46, s44, exec_lo
	s_delay_alu instid0(SALU_CYCLE_1)
	s_or_b32 s43, s43, s46
	s_and_not1_b32 exec_lo, exec_lo, s21
	s_cbranch_execz .LBB8_536
.LBB8_513:                              ;   Parent Loop BB8_77 Depth=1
                                        ; =>  This Inner Loop Header: Depth=2
	s_add_co_i32 s45, s45, 1
	s_delay_alu instid0(SALU_CYCLE_1) | instskip(SKIP_1) | instid1(SALU_CYCLE_1)
	s_cmp_lg_u32 s45, 0x2710
	s_cselect_b32 s46, -1, 0
	s_and_b32 vcc_lo, exec_lo, s46
	s_cbranch_vccz .LBB8_515
; %bb.514:                              ;   in Loop: Header=BB8_513 Depth=2
	s_mov_b32 s56, -1
	s_or_b32 s44, s44, exec_lo
	s_and_saveexec_b32 s47, s46
	s_cbranch_execz .LBB8_512
	s_branch .LBB8_516
.LBB8_515:                              ;   in Loop: Header=BB8_513 Depth=2
	s_trap 2
	ds_load_b64 v[12:13], v0
	s_and_not1_b32 s46, s46, exec_lo
	s_mov_b32 s45, 0
	s_wait_loadcnt_dscnt 0x0
	flat_load_b32 v11, v[12:13] scope:SCOPE_SYS
	s_wait_loadcnt_dscnt 0x0
	global_inv scope:SCOPE_SYS
	v_cmp_eq_u32_e32 vcc_lo, 0, v11
	s_and_b32 s47, vcc_lo, exec_lo
	s_delay_alu instid0(SALU_CYCLE_1)
	s_or_b32 s46, s46, s47
	s_mov_b32 s56, -1
	s_or_b32 s44, s44, exec_lo
	s_and_saveexec_b32 s47, s46
	s_cbranch_execz .LBB8_512
.LBB8_516:                              ;   in Loop: Header=BB8_513 Depth=2
	s_sleep 1
	s_trap 2
	ds_load_b64 v[12:13], v0
	s_wait_dscnt 0x0
	s_and_not1_b32 s44, s44, exec_lo
	v_cmp_ge_u64_e32 vcc_lo, v[12:13], v[26:27]
	s_or_not1_b32 s56, vcc_lo, exec_lo
	s_branch .LBB8_512
.LBB8_517:                              ;   in Loop: Header=BB8_77 Depth=1
	s_or_b32 exec_lo, exec_lo, s21
	s_and_saveexec_b32 s21, s42
	s_delay_alu instid0(SALU_CYCLE_1)
	s_xor_b32 s21, exec_lo, s21
	s_cbranch_execz .LBB8_519
; %bb.518:                              ;   in Loop: Header=BB8_77 Depth=1
	ds_store_b32 v0, v116
	s_trap 2
.LBB8_519:                              ;   in Loop: Header=BB8_77 Depth=1
	s_or_b32 exec_lo, exec_lo, s20
	;;#ASMSTART
	s_wakeup
	;;#ASMEND
.LBB8_520:                              ;   in Loop: Header=BB8_77 Depth=1
	s_or_b32 exec_lo, exec_lo, s19
.LBB8_521:                              ;   in Loop: Header=BB8_77 Depth=1
	s_and_not1_saveexec_b32 s18, s18
	s_cbranch_execz .LBB8_523
; %bb.522:                              ;   in Loop: Header=BB8_77 Depth=1
	global_wb scope:SCOPE_DEV
	s_wait_storecnt 0x0
	s_wait_loadcnt_dscnt 0x0
	global_inv scope:SCOPE_DEV
	s_barrier_signal -1
	s_barrier_wait -1
.LBB8_523:                              ;   in Loop: Header=BB8_77 Depth=1
	s_or_b32 exec_lo, exec_lo, s18
	s_delay_alu instid0(SALU_CYCLE_1) | instskip(SKIP_1) | instid1(SALU_CYCLE_1)
	s_or_b32 exec_lo, exec_lo, s16
                                        ; implicit-def: $vgpr11
	s_and_saveexec_b32 s16, s12
	s_xor_b32 s18, exec_lo, s16
	s_cbranch_execnz .LBB8_436
.LBB8_524:                              ;   in Loop: Header=BB8_77 Depth=1
	s_and_not1_saveexec_b32 s16, s18
	s_cbranch_execz .LBB8_562
.LBB8_525:                              ;   in Loop: Header=BB8_77 Depth=1
	s_and_saveexec_b32 s18, s4
	s_delay_alu instid0(SALU_CYCLE_1)
	s_xor_b32 s18, exec_lo, s18
	s_cbranch_execz .LBB8_559
; %bb.526:                              ;   in Loop: Header=BB8_77 Depth=1
	s_and_saveexec_b32 s19, s7
	s_cbranch_execz .LBB8_558
; %bb.527:                              ;   in Loop: Header=BB8_77 Depth=1
	s_mov_b32 s21, exec_lo
	s_mov_b32 s20, exec_lo
	v_mbcnt_lo_u32_b32 v10, s21, 0
	;;#ASMSTART
	s_waitcnt lgkmcnt(0) vmcnt(0)
	;;#ASMEND
	s_delay_alu instid0(VALU_DEP_1)
	v_cmpx_eq_u32_e32 0, v10
	s_cbranch_execz .LBB8_529
; %bb.528:                              ;   in Loop: Header=BB8_77 Depth=1
	s_bcnt1_i32_b32 s21, s21
	s_delay_alu instid0(SALU_CYCLE_1)
	v_mov_b32_e32 v34, s21
	s_wait_storecnt 0x0
	s_wait_loadcnt_dscnt 0x0
	ds_add_u64 v0, v[34:35]
	s_trap 2
.LBB8_529:                              ;   in Loop: Header=BB8_77 Depth=1
	s_or_b32 exec_lo, exec_lo, s20
	s_trap 2
	ds_load_b64 v[10:11], v0
	s_wait_dscnt 0x0
	v_add_nc_u64_e32 v[26:27], v[26:27], v[36:37]
	s_mov_b32 s20, exec_lo
	s_delay_alu instid0(VALU_DEP_1)
	v_cmpx_lt_u64_e64 v[10:11], v[26:27]
	s_cbranch_execz .LBB8_557
; %bb.530:                              ;   in Loop: Header=BB8_77 Depth=1
	s_mov_b32 s21, 0
	s_mov_b32 s44, 0
                                        ; implicit-def: $sgpr42
                                        ; implicit-def: $sgpr43
	s_branch .LBB8_532
.LBB8_531:                              ;   in Loop: Header=BB8_532 Depth=2
	s_or_b32 exec_lo, exec_lo, s46
	s_delay_alu instid0(SALU_CYCLE_1) | instskip(NEXT) | instid1(SALU_CYCLE_1)
	s_and_b32 s45, exec_lo, s47
	s_or_b32 s21, s45, s21
	s_and_not1_b32 s42, s42, exec_lo
	s_and_b32 s45, s43, exec_lo
	s_delay_alu instid0(SALU_CYCLE_1)
	s_or_b32 s42, s42, s45
	s_and_not1_b32 exec_lo, exec_lo, s21
	s_cbranch_execz .LBB8_555
.LBB8_532:                              ;   Parent Loop BB8_77 Depth=1
                                        ; =>  This Inner Loop Header: Depth=2
	s_add_co_i32 s44, s44, 1
	s_delay_alu instid0(SALU_CYCLE_1) | instskip(SKIP_1) | instid1(SALU_CYCLE_1)
	s_cmp_lg_u32 s44, 0x2710
	s_cselect_b32 s45, -1, 0
	s_and_b32 vcc_lo, exec_lo, s45
	s_cbranch_vccz .LBB8_534
; %bb.533:                              ;   in Loop: Header=BB8_532 Depth=2
	s_mov_b32 s47, -1
	s_or_b32 s43, s43, exec_lo
	s_and_saveexec_b32 s46, s45
	s_cbranch_execz .LBB8_531
	s_branch .LBB8_535
.LBB8_534:                              ;   in Loop: Header=BB8_532 Depth=2
	s_trap 2
	ds_load_b64 v[10:11], v0
	s_and_not1_b32 s45, s45, exec_lo
	s_mov_b32 s44, 0
	s_wait_storecnt 0x0
	s_wait_loadcnt_dscnt 0x0
	flat_load_b32 v10, v[10:11] scope:SCOPE_SYS
	s_wait_loadcnt_dscnt 0x0
	global_inv scope:SCOPE_SYS
	v_cmp_eq_u32_e32 vcc_lo, 0, v10
	s_and_b32 s46, vcc_lo, exec_lo
	s_delay_alu instid0(SALU_CYCLE_1)
	s_or_b32 s45, s45, s46
	s_mov_b32 s47, -1
	s_or_b32 s43, s43, exec_lo
	s_and_saveexec_b32 s46, s45
	s_cbranch_execz .LBB8_531
.LBB8_535:                              ;   in Loop: Header=BB8_532 Depth=2
	s_sleep 1
	s_trap 2
	ds_load_b64 v[10:11], v0
	s_wait_dscnt 0x0
	s_and_not1_b32 s43, s43, exec_lo
	v_cmp_ge_u64_e32 vcc_lo, v[10:11], v[26:27]
	s_or_not1_b32 s47, vcc_lo, exec_lo
	s_branch .LBB8_531
.LBB8_536:                              ;   in Loop: Header=BB8_77 Depth=1
	s_or_b32 exec_lo, exec_lo, s21
	s_and_saveexec_b32 s21, s43
	s_delay_alu instid0(SALU_CYCLE_1)
	s_xor_b32 s21, exec_lo, s21
	s_cbranch_execz .LBB8_538
; %bb.537:                              ;   in Loop: Header=BB8_77 Depth=1
	ds_store_b32 v0, v116
	s_trap 2
.LBB8_538:                              ;   in Loop: Header=BB8_77 Depth=1
	s_or_b32 exec_lo, exec_lo, s20
	;;#ASMSTART
	s_wakeup
	;;#ASMEND
.LBB8_539:                              ;   in Loop: Header=BB8_77 Depth=1
	s_or_b32 exec_lo, exec_lo, s19
.LBB8_540:                              ;   in Loop: Header=BB8_77 Depth=1
	s_and_not1_saveexec_b32 s18, s18
	s_cbranch_execz .LBB8_542
; %bb.541:                              ;   in Loop: Header=BB8_77 Depth=1
	global_wb scope:SCOPE_DEV
	s_wait_storecnt 0x0
	s_wait_loadcnt_dscnt 0x0
	global_inv scope:SCOPE_DEV
	s_barrier_signal -1
	s_barrier_wait -1
.LBB8_542:                              ;   in Loop: Header=BB8_77 Depth=1
	s_or_b32 exec_lo, exec_lo, s18
	s_delay_alu instid0(SALU_CYCLE_1) | instskip(SKIP_1) | instid1(SALU_CYCLE_1)
	s_or_b32 exec_lo, exec_lo, s16
                                        ; implicit-def: $vgpr11
	s_and_saveexec_b32 s16, s12
	s_xor_b32 s18, exec_lo, s16
	s_cbranch_execnz .LBB8_491
.LBB8_543:                              ;   in Loop: Header=BB8_77 Depth=1
	s_and_not1_saveexec_b32 s16, s18
	s_cbranch_execz .LBB8_611
.LBB8_544:                              ;   in Loop: Header=BB8_77 Depth=1
	s_and_saveexec_b32 s18, s4
	s_delay_alu instid0(SALU_CYCLE_1)
	s_xor_b32 s18, exec_lo, s18
	s_cbranch_execz .LBB8_608
; %bb.545:                              ;   in Loop: Header=BB8_77 Depth=1
	s_and_saveexec_b32 s19, s7
	s_cbranch_execz .LBB8_607
; %bb.546:                              ;   in Loop: Header=BB8_77 Depth=1
	s_mov_b32 s21, exec_lo
	s_mov_b32 s20, exec_lo
	v_mbcnt_lo_u32_b32 v10, s21, 0
	;;#ASMSTART
	s_waitcnt lgkmcnt(0) vmcnt(0)
	;;#ASMEND
	s_delay_alu instid0(VALU_DEP_1)
	v_cmpx_eq_u32_e32 0, v10
	s_cbranch_execz .LBB8_548
; %bb.547:                              ;   in Loop: Header=BB8_77 Depth=1
	s_bcnt1_i32_b32 s21, s21
	s_delay_alu instid0(SALU_CYCLE_1)
	v_mov_b32_e32 v34, s21
	s_wait_storecnt 0x0
	s_wait_loadcnt_dscnt 0x0
	ds_add_u64 v0, v[34:35]
	s_trap 2
.LBB8_548:                              ;   in Loop: Header=BB8_77 Depth=1
	s_or_b32 exec_lo, exec_lo, s20
	s_trap 2
	ds_load_b64 v[10:11], v0
	s_wait_dscnt 0x0
	v_add_nc_u64_e32 v[26:27], v[26:27], v[36:37]
	s_mov_b32 s20, exec_lo
	s_delay_alu instid0(VALU_DEP_1)
	v_cmpx_lt_u64_e64 v[10:11], v[26:27]
	s_cbranch_execz .LBB8_606
; %bb.549:                              ;   in Loop: Header=BB8_77 Depth=1
	s_mov_b32 s21, 0
	s_mov_b32 s45, 0
                                        ; implicit-def: $sgpr43
                                        ; implicit-def: $sgpr44
	s_branch .LBB8_551
.LBB8_550:                              ;   in Loop: Header=BB8_551 Depth=2
	s_or_b32 exec_lo, exec_lo, s47
	s_delay_alu instid0(SALU_CYCLE_1) | instskip(NEXT) | instid1(SALU_CYCLE_1)
	s_and_b32 s46, exec_lo, s56
	s_or_b32 s21, s46, s21
	s_and_not1_b32 s43, s43, exec_lo
	s_and_b32 s46, s44, exec_lo
	s_delay_alu instid0(SALU_CYCLE_1)
	s_or_b32 s43, s43, s46
	s_and_not1_b32 exec_lo, exec_lo, s21
	s_cbranch_execz .LBB8_604
.LBB8_551:                              ;   Parent Loop BB8_77 Depth=1
                                        ; =>  This Inner Loop Header: Depth=2
	s_add_co_i32 s45, s45, 1
	s_delay_alu instid0(SALU_CYCLE_1) | instskip(SKIP_1) | instid1(SALU_CYCLE_1)
	s_cmp_lg_u32 s45, 0x2710
	s_cselect_b32 s46, -1, 0
	s_and_b32 vcc_lo, exec_lo, s46
	s_cbranch_vccz .LBB8_553
; %bb.552:                              ;   in Loop: Header=BB8_551 Depth=2
	s_mov_b32 s56, -1
	s_or_b32 s44, s44, exec_lo
	s_and_saveexec_b32 s47, s46
	s_cbranch_execz .LBB8_550
	s_branch .LBB8_554
.LBB8_553:                              ;   in Loop: Header=BB8_551 Depth=2
	s_trap 2
	ds_load_b64 v[10:11], v0
	s_and_not1_b32 s46, s46, exec_lo
	s_mov_b32 s45, 0
	s_wait_storecnt 0x0
	s_wait_loadcnt_dscnt 0x0
	flat_load_b32 v10, v[10:11] scope:SCOPE_SYS
	s_wait_loadcnt_dscnt 0x0
	global_inv scope:SCOPE_SYS
	v_cmp_eq_u32_e32 vcc_lo, 0, v10
	s_and_b32 s47, vcc_lo, exec_lo
	s_delay_alu instid0(SALU_CYCLE_1)
	s_or_b32 s46, s46, s47
	s_mov_b32 s56, -1
	s_or_b32 s44, s44, exec_lo
	s_and_saveexec_b32 s47, s46
	s_cbranch_execz .LBB8_550
.LBB8_554:                              ;   in Loop: Header=BB8_551 Depth=2
	s_sleep 1
	s_trap 2
	ds_load_b64 v[10:11], v0
	s_wait_dscnt 0x0
	s_and_not1_b32 s44, s44, exec_lo
	v_cmp_ge_u64_e32 vcc_lo, v[10:11], v[26:27]
	s_or_not1_b32 s56, vcc_lo, exec_lo
	s_branch .LBB8_550
.LBB8_555:                              ;   in Loop: Header=BB8_77 Depth=1
	s_or_b32 exec_lo, exec_lo, s21
	s_and_saveexec_b32 s21, s42
	s_delay_alu instid0(SALU_CYCLE_1)
	s_xor_b32 s21, exec_lo, s21
	s_cbranch_execz .LBB8_557
; %bb.556:                              ;   in Loop: Header=BB8_77 Depth=1
	ds_store_b32 v0, v116
	s_trap 2
.LBB8_557:                              ;   in Loop: Header=BB8_77 Depth=1
	s_or_b32 exec_lo, exec_lo, s20
	;;#ASMSTART
	s_wakeup
	;;#ASMEND
.LBB8_558:                              ;   in Loop: Header=BB8_77 Depth=1
	s_or_b32 exec_lo, exec_lo, s19
.LBB8_559:                              ;   in Loop: Header=BB8_77 Depth=1
	s_and_not1_saveexec_b32 s18, s18
	s_cbranch_execz .LBB8_561
; %bb.560:                              ;   in Loop: Header=BB8_77 Depth=1
	;;#ASMSTART
	s_waitcnt lgkmcnt(0) vmcnt(0)
	;;#ASMEND
	s_barrier_signal -1
	s_barrier_wait -1
.LBB8_561:                              ;   in Loop: Header=BB8_77 Depth=1
	s_or_b32 exec_lo, exec_lo, s18
	v_and_b32_e32 v11, 16, v114
.LBB8_562:                              ;   in Loop: Header=BB8_77 Depth=1
	s_or_b32 exec_lo, exec_lo, s16
	s_delay_alu instid0(VALU_DEP_1) | instskip(SKIP_1) | instid1(SALU_CYCLE_1)
	v_cmp_ne_u32_e32 vcc_lo, 0, v11
	s_xor_b32 s16, s5, -1
	s_and_b32 s18, vcc_lo, s16
	s_delay_alu instid0(SALU_CYCLE_1)
	s_and_saveexec_b32 s16, s18
	s_cbranch_execz .LBB8_564
; %bb.563:                              ;   in Loop: Header=BB8_77 Depth=1
	global_wb scope:SCOPE_SYS
	s_wait_storecnt 0x0
	s_wait_loadcnt_dscnt 0x0
	flat_store_b32 v[28:29], v116 scope:SCOPE_SYS
.LBB8_564:                              ;   in Loop: Header=BB8_77 Depth=1
	s_wait_xcnt 0x0
	s_or_b32 exec_lo, exec_lo, s16
	v_and_b32_e32 v10, 48, v114
	s_delay_alu instid0(VALU_DEP_1)
	v_cmp_ne_u32_e32 vcc_lo, 0, v10
	s_and_b32 s16, vcc_lo, exec_lo
.LBB8_565:                              ;   in Loop: Header=BB8_77 Depth=1
	s_or_b32 exec_lo, exec_lo, s17
	s_delay_alu instid0(SALU_CYCLE_1)
	s_and_b32 s17, s16, exec_lo
                                        ; implicit-def: $vgpr84
                                        ; implicit-def: $vgpr40
                                        ; implicit-def: $vgpr10_vgpr11
.LBB8_566:                              ;   in Loop: Header=BB8_77 Depth=1
	s_and_not1_saveexec_b32 s18, s40
	s_cbranch_execz .LBB8_996
; %bb.567:                              ;   in Loop: Header=BB8_77 Depth=1
	v_mov_b32_e32 v85, 0
	s_and_saveexec_b32 s19, s15
	s_cbranch_execz .LBB8_845
; %bb.568:                              ;   in Loop: Header=BB8_77 Depth=1
	s_and_saveexec_b32 s16, s0
	s_cbranch_execz .LBB8_570
; %bb.569:                              ;   in Loop: Header=BB8_77 Depth=1
	s_trap 2
	ds_load_b128 v[96:99], v0
	s_wait_dscnt 0x0
	v_add_nc_u64_e32 v[12:13], v[98:99], v[10:11]
	v_cmp_ne_u64_e32 vcc_lo, 0, v[98:99]
	v_add_nc_u64_e32 v[10:11], v[96:97], v[10:11]
	s_delay_alu instid0(VALU_DEP_3)
	v_dual_cndmask_b32 v13, 0, v13 :: v_dual_cndmask_b32 v12, 0, v12
	ds_store_b64 v0, v[10:11]
	ds_store_b64 v0, v[12:13]
.LBB8_570:                              ;   in Loop: Header=BB8_77 Depth=1
	s_or_b32 exec_lo, exec_lo, s16
	v_and_b32_e32 v10, 4, v114
	s_mov_b32 s20, exec_lo
	s_delay_alu instid0(VALU_DEP_1)
	v_cmpx_ne_u32_e32 0, v10
	s_cbranch_execz .LBB8_592
; %bb.571:                              ;   in Loop: Header=BB8_77 Depth=1
	v_add_nc_u64_e32 v[10:11], 1, v[8:9]
	s_mov_b32 s21, exec_lo
	s_wait_loadcnt_dscnt 0x1
	s_delay_alu instid0(VALU_DEP_1)
	v_cmpx_lt_u64_e64 v[32:33], v[10:11]
	s_cbranch_execz .LBB8_583
; %bb.572:                              ;   in Loop: Header=BB8_77 Depth=1
	v_and_b32_e32 v9, 64, v114
	s_mov_b32 s40, 0
	s_mov_b32 s45, 0
                                        ; implicit-def: $sgpr42
                                        ; implicit-def: $sgpr43
                                        ; implicit-def: $sgpr44
	s_delay_alu instid0(VALU_DEP_1)
	v_cmp_eq_u32_e32 vcc_lo, 0, v9
	s_branch .LBB8_576
.LBB8_573:                              ;   in Loop: Header=BB8_576 Depth=2
	s_wait_loadcnt_dscnt 0x0
	v_cmp_ge_u64_e64 s16, v[32:33], v[10:11]
	s_or_b32 s56, s56, exec_lo
	s_or_not1_b32 s47, s16, exec_lo
.LBB8_574:                              ;   in Loop: Header=BB8_576 Depth=2
	s_or_b32 exec_lo, exec_lo, s58
	s_delay_alu instid0(SALU_CYCLE_1)
	s_and_not1_b32 s16, s44, exec_lo
	s_and_b32 s44, s56, exec_lo
	s_and_not1_b32 s43, s43, exec_lo
	s_and_b32 s47, s47, exec_lo
	s_or_b32 s44, s16, s44
	s_or_b32 s43, s43, s47
.LBB8_575:                              ;   in Loop: Header=BB8_576 Depth=2
	s_or_b32 exec_lo, exec_lo, s46
	s_delay_alu instid0(SALU_CYCLE_1) | instskip(NEXT) | instid1(SALU_CYCLE_1)
	s_and_b32 s16, exec_lo, s43
	s_or_b32 s40, s16, s40
	s_and_not1_b32 s16, s42, exec_lo
	s_and_b32 s42, s44, exec_lo
	s_delay_alu instid0(SALU_CYCLE_1)
	s_or_b32 s42, s16, s42
	s_and_not1_b32 exec_lo, exec_lo, s40
	s_cbranch_execz .LBB8_580
.LBB8_576:                              ;   Parent Loop BB8_77 Depth=1
                                        ; =>  This Inner Loop Header: Depth=2
	s_sleep 1
	s_wait_loadcnt_dscnt 0x0
	flat_load_b64 v[32:33], v[20:21] scope:SCOPE_SYS
	s_or_b32 s44, s44, exec_lo
	s_or_b32 s43, s43, exec_lo
                                        ; implicit-def: $vgpr9
	s_wait_xcnt 0x0
	s_and_saveexec_b32 s46, vcc_lo
	s_cbranch_execz .LBB8_575
; %bb.577:                              ;   in Loop: Header=BB8_576 Depth=2
	s_cmp_lt_i32 s45, 0x270f
	s_mov_b32 s47, -1
	s_cselect_b32 s57, -1, 0
	s_cmp_gt_i32 s45, 0x270e
	s_cbranch_scc0 .LBB8_579
; %bb.578:                              ;   in Loop: Header=BB8_576 Depth=2
	s_trap 2
	ds_load_b64 v[12:13], v0
	s_and_not1_b32 s45, s57, exec_lo
	s_mov_b32 s56, 0
	s_wait_storecnt 0x0
	s_wait_loadcnt_dscnt 0x0
	flat_load_b32 v9, v[12:13] scope:SCOPE_SYS
	s_wait_loadcnt_dscnt 0x0
	global_inv scope:SCOPE_SYS
	v_cmp_eq_u32_e64 s16, 0, v9
	s_and_b32 s16, s16, exec_lo
	s_delay_alu instid0(SALU_CYCLE_1)
	s_or_b32 s57, s45, s16
	s_mov_b32 s45, 0
	s_and_saveexec_b32 s58, s57
	s_cbranch_execz .LBB8_574
	s_branch .LBB8_573
.LBB8_579:                              ;   in Loop: Header=BB8_576 Depth=2
	s_add_co_i32 s45, s45, 1
	s_mov_b32 s56, -1
                                        ; implicit-def: $vgpr9
	s_and_saveexec_b32 s58, s57
	s_cbranch_execz .LBB8_574
	s_branch .LBB8_573
.LBB8_580:                              ;   in Loop: Header=BB8_77 Depth=1
	s_or_b32 exec_lo, exec_lo, s40
	s_xor_b32 s16, s42, -1
	s_delay_alu instid0(SALU_CYCLE_1) | instskip(NEXT) | instid1(SALU_CYCLE_1)
	s_and_saveexec_b32 s40, s16
	s_xor_b32 s16, exec_lo, s40
	s_cbranch_execz .LBB8_582
; %bb.581:                              ;   in Loop: Header=BB8_77 Depth=1
	v_or_b32_e32 v114, 64, v114
	s_wait_storecnt 0x0
	s_wait_loadcnt_dscnt 0x0
	ds_store_b32 v0, v9
	s_trap 2
.LBB8_582:                              ;   in Loop: Header=BB8_77 Depth=1
	s_or_b32 exec_lo, exec_lo, s16
.LBB8_583:                              ;   in Loop: Header=BB8_77 Depth=1
	s_delay_alu instid0(SALU_CYCLE_1) | instskip(SKIP_4) | instid1(VALU_DEP_2)
	s_or_b32 exec_lo, exec_lo, s21
	v_and_b32_e32 v9, 0x100, v114
	v_and_b32_e32 v34, 7, v8
	s_mov_b32 s16, -1
	;;#ASMSTART
	s_wakeup
	;;#ASMEND
	v_cmp_ne_u32_e32 vcc_lo, 0, v9
                                        ; implicit-def: $vgpr8_vgpr9
	s_and_saveexec_b32 s21, vcc_lo
	s_cbranch_execz .LBB8_587
; %bb.584:                              ;   in Loop: Header=BB8_77 Depth=1
	v_mad_nc_u64_u32 v[12:13], v34, 24, v[6:7]
	flat_load_b32 v8, v[12:13]
	s_wait_loadcnt_dscnt 0x0
	v_cmp_eq_u32_e64 s16, 1, v8
	v_cmp_ne_u32_e32 vcc_lo, 1, v8
                                        ; implicit-def: $vgpr8_vgpr9
	s_wait_xcnt 0x0
	s_and_saveexec_b32 s40, s16
	s_cbranch_execz .LBB8_586
; %bb.585:                              ;   in Loop: Header=BB8_77 Depth=1
	flat_load_b32 v8, v[12:13] offset:4 scope:SCOPE_SYS
	s_wait_loadcnt_dscnt 0x0
	v_ashrrev_i32_e32 v9, 31, v8
.LBB8_586:                              ;   in Loop: Header=BB8_77 Depth=1
	s_wait_xcnt 0x0
	s_or_b32 exec_lo, exec_lo, s40
	s_delay_alu instid0(SALU_CYCLE_1)
	s_or_not1_b32 s16, vcc_lo, exec_lo
.LBB8_587:                              ;   in Loop: Header=BB8_77 Depth=1
	s_or_b32 exec_lo, exec_lo, s21
	s_and_saveexec_b32 s21, s16
; %bb.588:                              ;   in Loop: Header=BB8_77 Depth=1
	v_mul_u64_e32 v[8:9], v[34:35], v[22:23]
; %bb.589:                              ;   in Loop: Header=BB8_77 Depth=1
	s_or_b32 exec_lo, exec_lo, s21
	s_delay_alu instid0(VALU_DEP_1)
	v_add_nc_u64_e32 v[8:9], v[24:25], v[8:9]
	v_and_b32_e32 v12, 0x2000, v114
	s_mov_b32 s16, exec_lo
	ds_store_b64 v0, v[8:9] offset:720
	v_cmpx_ne_u32_e32 0, v12
	s_cbranch_execz .LBB8_591
; %bb.590:                              ;   in Loop: Header=BB8_77 Depth=1
	ds_load_b64 v[8:9], v0 offset:872
	s_wait_dscnt 0x0
	v_add_nc_u64_e32 v[8:9], 1, v[8:9]
	ds_store_b64 v0, v[8:9] offset:872
.LBB8_591:                              ;   in Loop: Header=BB8_77 Depth=1
	s_or_b32 exec_lo, exec_lo, s16
	v_mov_b64_e32 v[8:9], v[10:11]
.LBB8_592:                              ;   in Loop: Header=BB8_77 Depth=1
	s_or_b32 exec_lo, exec_lo, s20
	s_and_saveexec_b32 s16, s3
	s_cbranch_execz .LBB8_660
; %bb.593:                              ;   in Loop: Header=BB8_77 Depth=1
	s_and_saveexec_b32 s20, s4
	s_delay_alu instid0(SALU_CYCLE_1)
	s_xor_b32 s20, exec_lo, s20
	s_cbranch_execz .LBB8_657
; %bb.594:                              ;   in Loop: Header=BB8_77 Depth=1
	s_and_saveexec_b32 s21, s7
	s_cbranch_execz .LBB8_656
; %bb.595:                              ;   in Loop: Header=BB8_77 Depth=1
	s_mov_b32 s42, exec_lo
	s_mov_b32 s40, exec_lo
	v_mbcnt_lo_u32_b32 v10, s42, 0
	global_wb scope:SCOPE_DEV
	s_wait_storecnt 0x0
	s_wait_loadcnt_dscnt 0x0
	global_inv scope:SCOPE_DEV
	v_cmpx_eq_u32_e32 0, v10
	s_cbranch_execz .LBB8_597
; %bb.596:                              ;   in Loop: Header=BB8_77 Depth=1
	s_bcnt1_i32_b32 s42, s42
	s_delay_alu instid0(SALU_CYCLE_1)
	v_mov_b32_e32 v34, s42
	s_wait_loadcnt 0x0
	ds_add_u64 v0, v[34:35]
	s_trap 2
.LBB8_597:                              ;   in Loop: Header=BB8_77 Depth=1
	s_or_b32 exec_lo, exec_lo, s40
	s_trap 2
	ds_load_b64 v[10:11], v0
	s_wait_dscnt 0x0
	v_add_nc_u64_e32 v[26:27], v[26:27], v[36:37]
	s_mov_b32 s40, exec_lo
	s_delay_alu instid0(VALU_DEP_1)
	v_cmpx_lt_u64_e64 v[10:11], v[26:27]
	s_cbranch_execz .LBB8_655
; %bb.598:                              ;   in Loop: Header=BB8_77 Depth=1
	s_mov_b32 s42, 0
	s_mov_b32 s45, 0
                                        ; implicit-def: $sgpr43
                                        ; implicit-def: $sgpr44
	s_branch .LBB8_600
.LBB8_599:                              ;   in Loop: Header=BB8_600 Depth=2
	s_or_b32 exec_lo, exec_lo, s47
	s_delay_alu instid0(SALU_CYCLE_1) | instskip(NEXT) | instid1(SALU_CYCLE_1)
	s_and_b32 s46, exec_lo, s56
	s_or_b32 s42, s46, s42
	s_and_not1_b32 s43, s43, exec_lo
	s_and_b32 s46, s44, exec_lo
	s_delay_alu instid0(SALU_CYCLE_1)
	s_or_b32 s43, s43, s46
	s_and_not1_b32 exec_lo, exec_lo, s42
	s_cbranch_execz .LBB8_653
.LBB8_600:                              ;   Parent Loop BB8_77 Depth=1
                                        ; =>  This Inner Loop Header: Depth=2
	s_add_co_i32 s45, s45, 1
	s_delay_alu instid0(SALU_CYCLE_1) | instskip(SKIP_1) | instid1(SALU_CYCLE_1)
	s_cmp_lg_u32 s45, 0x2710
	s_cselect_b32 s46, -1, 0
	s_and_b32 vcc_lo, exec_lo, s46
	s_cbranch_vccz .LBB8_602
; %bb.601:                              ;   in Loop: Header=BB8_600 Depth=2
	s_mov_b32 s56, -1
	s_or_b32 s44, s44, exec_lo
	s_and_saveexec_b32 s47, s46
	s_cbranch_execz .LBB8_599
	s_branch .LBB8_603
.LBB8_602:                              ;   in Loop: Header=BB8_600 Depth=2
	s_trap 2
	ds_load_b64 v[10:11], v0
	s_and_not1_b32 s46, s46, exec_lo
	s_mov_b32 s45, 0
	s_wait_loadcnt_dscnt 0x0
	flat_load_b32 v10, v[10:11] scope:SCOPE_SYS
	s_wait_loadcnt_dscnt 0x0
	global_inv scope:SCOPE_SYS
	v_cmp_eq_u32_e32 vcc_lo, 0, v10
	s_and_b32 s47, vcc_lo, exec_lo
	s_delay_alu instid0(SALU_CYCLE_1)
	s_or_b32 s46, s46, s47
	s_mov_b32 s56, -1
	s_or_b32 s44, s44, exec_lo
	s_and_saveexec_b32 s47, s46
	s_cbranch_execz .LBB8_599
.LBB8_603:                              ;   in Loop: Header=BB8_600 Depth=2
	s_sleep 1
	s_trap 2
	ds_load_b64 v[10:11], v0
	s_wait_dscnt 0x0
	s_and_not1_b32 s44, s44, exec_lo
	v_cmp_ge_u64_e32 vcc_lo, v[10:11], v[26:27]
	s_or_not1_b32 s56, vcc_lo, exec_lo
	s_branch .LBB8_599
.LBB8_604:                              ;   in Loop: Header=BB8_77 Depth=1
	s_or_b32 exec_lo, exec_lo, s21
	s_and_saveexec_b32 s21, s43
	s_delay_alu instid0(SALU_CYCLE_1)
	s_xor_b32 s21, exec_lo, s21
	s_cbranch_execz .LBB8_606
; %bb.605:                              ;   in Loop: Header=BB8_77 Depth=1
	ds_store_b32 v0, v116
	s_trap 2
.LBB8_606:                              ;   in Loop: Header=BB8_77 Depth=1
	s_or_b32 exec_lo, exec_lo, s20
	;;#ASMSTART
	s_wakeup
	;;#ASMEND
.LBB8_607:                              ;   in Loop: Header=BB8_77 Depth=1
	s_or_b32 exec_lo, exec_lo, s19
.LBB8_608:                              ;   in Loop: Header=BB8_77 Depth=1
	s_and_not1_saveexec_b32 s18, s18
	s_cbranch_execz .LBB8_610
; %bb.609:                              ;   in Loop: Header=BB8_77 Depth=1
	;;#ASMSTART
	s_waitcnt lgkmcnt(0) vmcnt(0)
	;;#ASMEND
	s_barrier_signal -1
	s_barrier_wait -1
.LBB8_610:                              ;   in Loop: Header=BB8_77 Depth=1
	s_or_b32 exec_lo, exec_lo, s18
	v_and_b32_e32 v11, 16, v114
.LBB8_611:                              ;   in Loop: Header=BB8_77 Depth=1
	s_or_b32 exec_lo, exec_lo, s16
	s_mov_b32 s18, 0
	s_mov_b32 s16, s40
	s_mov_b32 s19, exec_lo
	v_cmpx_ne_u32_e32 0, v11
	s_xor_b32 s19, exec_lo, s19
; %bb.612:                              ;   in Loop: Header=BB8_77 Depth=1
	s_and_not1_b32 s16, s40, exec_lo
	s_and_b32 s18, s5, exec_lo
	s_delay_alu instid0(SALU_CYCLE_1)
	s_or_b32 s16, s16, s18
	s_and_b32 s18, s6, exec_lo
; %bb.613:                              ;   in Loop: Header=BB8_77 Depth=1
	s_or_b32 exec_lo, exec_lo, s19
	s_delay_alu instid0(SALU_CYCLE_1)
	s_and_not1_b32 s19, s40, exec_lo
	s_and_b32 s16, s16, exec_lo
	s_and_b32 s18, s18, exec_lo
	s_or_b32 s16, s19, s16
.LBB8_614:                              ;   in Loop: Header=BB8_77 Depth=1
	s_or_b32 exec_lo, exec_lo, s17
	s_delay_alu instid0(SALU_CYCLE_1) | instskip(SKIP_1) | instid1(SALU_CYCLE_1)
	s_and_not1_b32 s17, s40, exec_lo
	s_and_b32 s16, s16, exec_lo
                                        ; implicit-def: $vgpr84
                                        ; implicit-def: $vgpr40
                                        ; implicit-def: $vgpr10_vgpr11
	s_or_b32 s16, s17, s16
	s_and_b32 s17, s18, exec_lo
.LBB8_615:                              ;   in Loop: Header=BB8_77 Depth=1
	s_and_not1_saveexec_b32 s18, s42
	s_cbranch_execz .LBB8_984
; %bb.616:                              ;   in Loop: Header=BB8_77 Depth=1
	v_mov_b32_e32 v12, 0
	s_and_saveexec_b32 s19, s15
	s_cbranch_execz .LBB8_896
; %bb.617:                              ;   in Loop: Header=BB8_77 Depth=1
	s_and_saveexec_b32 s15, s0
	s_cbranch_execz .LBB8_619
; %bb.618:                              ;   in Loop: Header=BB8_77 Depth=1
	s_trap 2
	ds_load_b64 v[12:13], v0
	s_wait_dscnt 0x0
	v_add_nc_u64_e32 v[10:11], v[12:13], v[10:11]
	v_mov_b64_e32 v[12:13], 0
	ds_store_b64 v0, v[10:11]
	ds_store_b64 v0, v[12:13]
.LBB8_619:                              ;   in Loop: Header=BB8_77 Depth=1
	s_or_b32 exec_lo, exec_lo, s15
	v_and_b32_e32 v10, 8, v114
	v_min_i32_e32 v84, v84, v40
	s_mov_b32 s20, exec_lo
	s_delay_alu instid0(VALU_DEP_2)
	v_cmpx_ne_u32_e32 0, v10
	s_cbranch_execz .LBB8_641
; %bb.620:                              ;   in Loop: Header=BB8_77 Depth=1
	s_wait_loadcnt_dscnt 0x1
	v_add_nc_u64_e32 v[12:13], 8, v[32:33]
	v_add_nc_u64_e32 v[10:11], 1, v[8:9]
	s_mov_b32 s21, exec_lo
	s_delay_alu instid0(VALU_DEP_1)
	v_cmpx_lt_u64_e64 v[12:13], v[10:11]
	s_cbranch_execz .LBB8_632
; %bb.621:                              ;   in Loop: Header=BB8_77 Depth=1
	v_and_b32_e32 v9, 64, v114
	s_mov_b32 s42, 0
	s_mov_b32 s46, 0
                                        ; implicit-def: $sgpr43
                                        ; implicit-def: $sgpr44
                                        ; implicit-def: $sgpr45
	s_delay_alu instid0(VALU_DEP_1)
	v_cmp_eq_u32_e32 vcc_lo, 0, v9
	s_branch .LBB8_625
.LBB8_622:                              ;   in Loop: Header=BB8_625 Depth=2
	s_wait_loadcnt_dscnt 0x0
	v_add_nc_u64_e32 v[12:13], 8, v[32:33]
	s_or_b32 s57, s57, exec_lo
	s_delay_alu instid0(VALU_DEP_1)
	v_cmp_ge_u64_e64 s15, v[12:13], v[10:11]
	s_or_not1_b32 s56, s15, exec_lo
.LBB8_623:                              ;   in Loop: Header=BB8_625 Depth=2
	s_or_b32 exec_lo, exec_lo, s59
	s_delay_alu instid0(SALU_CYCLE_1)
	s_and_not1_b32 s15, s45, exec_lo
	s_and_b32 s45, s57, exec_lo
	s_and_not1_b32 s44, s44, exec_lo
	s_and_b32 s56, s56, exec_lo
	s_or_b32 s45, s15, s45
	s_or_b32 s44, s44, s56
.LBB8_624:                              ;   in Loop: Header=BB8_625 Depth=2
	s_or_b32 exec_lo, exec_lo, s47
	s_delay_alu instid0(SALU_CYCLE_1) | instskip(NEXT) | instid1(SALU_CYCLE_1)
	s_and_b32 s15, exec_lo, s44
	s_or_b32 s42, s15, s42
	s_and_not1_b32 s15, s43, exec_lo
	s_and_b32 s43, s45, exec_lo
	s_delay_alu instid0(SALU_CYCLE_1)
	s_or_b32 s43, s15, s43
	s_and_not1_b32 exec_lo, exec_lo, s42
	s_cbranch_execz .LBB8_629
.LBB8_625:                              ;   Parent Loop BB8_77 Depth=1
                                        ; =>  This Inner Loop Header: Depth=2
	s_sleep 1
	s_wait_loadcnt_dscnt 0x0
	flat_load_b64 v[32:33], v[20:21] scope:SCOPE_SYS
	s_or_b32 s45, s45, exec_lo
	s_or_b32 s44, s44, exec_lo
                                        ; implicit-def: $vgpr9
	s_wait_xcnt 0x0
	s_and_saveexec_b32 s47, vcc_lo
	s_cbranch_execz .LBB8_624
; %bb.626:                              ;   in Loop: Header=BB8_625 Depth=2
	s_cmp_lt_i32 s46, 0x270f
	s_mov_b32 s56, -1
	s_cselect_b32 s58, -1, 0
	s_cmp_gt_i32 s46, 0x270e
	s_cbranch_scc0 .LBB8_628
; %bb.627:                              ;   in Loop: Header=BB8_625 Depth=2
	s_trap 2
	ds_load_b64 v[12:13], v0
	s_and_not1_b32 s46, s58, exec_lo
	s_mov_b32 s57, 0
	s_wait_storecnt 0x0
	s_wait_loadcnt_dscnt 0x0
	flat_load_b32 v9, v[12:13] scope:SCOPE_SYS
	s_wait_loadcnt_dscnt 0x0
	global_inv scope:SCOPE_SYS
	v_cmp_eq_u32_e64 s15, 0, v9
	s_and_b32 s15, s15, exec_lo
	s_delay_alu instid0(SALU_CYCLE_1)
	s_or_b32 s58, s46, s15
	s_mov_b32 s46, 0
	s_and_saveexec_b32 s59, s58
	s_cbranch_execz .LBB8_623
	s_branch .LBB8_622
.LBB8_628:                              ;   in Loop: Header=BB8_625 Depth=2
	s_add_co_i32 s46, s46, 1
	s_mov_b32 s57, -1
                                        ; implicit-def: $vgpr9
	s_and_saveexec_b32 s59, s58
	s_cbranch_execz .LBB8_623
	s_branch .LBB8_622
.LBB8_629:                              ;   in Loop: Header=BB8_77 Depth=1
	s_or_b32 exec_lo, exec_lo, s42
	s_xor_b32 s15, s43, -1
	s_delay_alu instid0(SALU_CYCLE_1) | instskip(NEXT) | instid1(SALU_CYCLE_1)
	s_and_saveexec_b32 s42, s15
	s_xor_b32 s15, exec_lo, s42
	s_cbranch_execz .LBB8_631
; %bb.630:                              ;   in Loop: Header=BB8_77 Depth=1
	v_or_b32_e32 v114, 64, v114
	s_wait_storecnt 0x0
	s_wait_loadcnt_dscnt 0x0
	ds_store_b32 v0, v9
	s_trap 2
.LBB8_631:                              ;   in Loop: Header=BB8_77 Depth=1
	s_or_b32 exec_lo, exec_lo, s15
.LBB8_632:                              ;   in Loop: Header=BB8_77 Depth=1
	s_delay_alu instid0(SALU_CYCLE_1) | instskip(SKIP_4) | instid1(VALU_DEP_2)
	s_or_b32 exec_lo, exec_lo, s21
	v_and_b32_e32 v9, 0x100, v114
	v_and_b32_e32 v34, 7, v8
	s_mov_b32 s15, -1
	;;#ASMSTART
	s_wakeup
	;;#ASMEND
	v_cmp_ne_u32_e32 vcc_lo, 0, v9
                                        ; implicit-def: $vgpr8_vgpr9
	s_and_saveexec_b32 s21, vcc_lo
	s_cbranch_execz .LBB8_636
; %bb.633:                              ;   in Loop: Header=BB8_77 Depth=1
	v_mad_nc_u64_u32 v[12:13], v34, 24, v[6:7]
	v_ashrrev_i32_e32 v85, 31, v84
	s_clause 0x1
	flat_load_b32 v8, v[12:13]
	flat_store_b64 v[12:13], v[84:85] offset:8
	s_wait_loadcnt_dscnt 0x1
	v_cmp_eq_u32_e64 s15, 1, v8
	v_cmp_ne_u32_e32 vcc_lo, 1, v8
                                        ; implicit-def: $vgpr8_vgpr9
	s_wait_xcnt 0x0
	s_and_saveexec_b32 s42, s15
	s_cbranch_execz .LBB8_635
; %bb.634:                              ;   in Loop: Header=BB8_77 Depth=1
	flat_load_b32 v8, v[12:13] offset:4 scope:SCOPE_SYS
	s_wait_loadcnt_dscnt 0x0
	v_ashrrev_i32_e32 v9, 31, v8
.LBB8_635:                              ;   in Loop: Header=BB8_77 Depth=1
	s_wait_xcnt 0x0
	s_or_b32 exec_lo, exec_lo, s42
	s_delay_alu instid0(SALU_CYCLE_1)
	s_or_not1_b32 s15, vcc_lo, exec_lo
.LBB8_636:                              ;   in Loop: Header=BB8_77 Depth=1
	s_or_b32 exec_lo, exec_lo, s21
	s_and_saveexec_b32 s21, s15
; %bb.637:                              ;   in Loop: Header=BB8_77 Depth=1
	v_mul_u64_e32 v[8:9], v[34:35], v[22:23]
; %bb.638:                              ;   in Loop: Header=BB8_77 Depth=1
	s_or_b32 exec_lo, exec_lo, s21
	s_delay_alu instid0(VALU_DEP_1)
	v_add_nc_u64_e32 v[8:9], v[24:25], v[8:9]
	v_and_b32_e32 v12, 0x2000, v114
	s_mov_b32 s15, exec_lo
	ds_store_b64 v0, v[8:9] offset:784
	v_cmpx_ne_u32_e32 0, v12
	s_cbranch_execz .LBB8_640
; %bb.639:                              ;   in Loop: Header=BB8_77 Depth=1
	ds_load_b64 v[8:9], v0 offset:872
	s_wait_dscnt 0x0
	v_add_nc_u64_e32 v[8:9], 1, v[8:9]
	ds_store_b64 v0, v[8:9] offset:872
.LBB8_640:                              ;   in Loop: Header=BB8_77 Depth=1
	s_or_b32 exec_lo, exec_lo, s15
	v_mov_b64_e32 v[8:9], v[10:11]
.LBB8_641:                              ;   in Loop: Header=BB8_77 Depth=1
	s_or_b32 exec_lo, exec_lo, s20
	s_and_saveexec_b32 s15, s3
	s_cbranch_execz .LBB8_679
; %bb.642:                              ;   in Loop: Header=BB8_77 Depth=1
	s_and_saveexec_b32 s20, s4
	s_delay_alu instid0(SALU_CYCLE_1)
	s_xor_b32 s20, exec_lo, s20
	s_cbranch_execz .LBB8_676
; %bb.643:                              ;   in Loop: Header=BB8_77 Depth=1
	s_and_saveexec_b32 s21, s7
	s_cbranch_execz .LBB8_675
; %bb.644:                              ;   in Loop: Header=BB8_77 Depth=1
	s_mov_b32 s43, exec_lo
	s_mov_b32 s42, exec_lo
	v_mbcnt_lo_u32_b32 v10, s43, 0
	global_wb scope:SCOPE_DEV
	s_wait_storecnt 0x0
	s_wait_loadcnt_dscnt 0x0
	global_inv scope:SCOPE_DEV
	v_cmpx_eq_u32_e32 0, v10
	s_cbranch_execz .LBB8_646
; %bb.645:                              ;   in Loop: Header=BB8_77 Depth=1
	s_bcnt1_i32_b32 s43, s43
	s_delay_alu instid0(SALU_CYCLE_1)
	v_mov_b32_e32 v34, s43
	s_wait_loadcnt 0x0
	ds_add_u64 v0, v[34:35]
	s_trap 2
.LBB8_646:                              ;   in Loop: Header=BB8_77 Depth=1
	s_or_b32 exec_lo, exec_lo, s42
	s_trap 2
	ds_load_b64 v[10:11], v0
	s_wait_dscnt 0x0
	v_add_nc_u64_e32 v[26:27], v[26:27], v[36:37]
	s_mov_b32 s42, exec_lo
	s_delay_alu instid0(VALU_DEP_1)
	v_cmpx_lt_u64_e64 v[10:11], v[26:27]
	s_cbranch_execz .LBB8_674
; %bb.647:                              ;   in Loop: Header=BB8_77 Depth=1
	s_mov_b32 s43, 0
	s_mov_b32 s46, 0
                                        ; implicit-def: $sgpr44
                                        ; implicit-def: $sgpr45
	s_branch .LBB8_649
.LBB8_648:                              ;   in Loop: Header=BB8_649 Depth=2
	s_or_b32 exec_lo, exec_lo, s56
	s_delay_alu instid0(SALU_CYCLE_1) | instskip(NEXT) | instid1(SALU_CYCLE_1)
	s_and_b32 s47, exec_lo, s57
	s_or_b32 s43, s47, s43
	s_and_not1_b32 s44, s44, exec_lo
	s_and_b32 s47, s45, exec_lo
	s_delay_alu instid0(SALU_CYCLE_1)
	s_or_b32 s44, s44, s47
	s_and_not1_b32 exec_lo, exec_lo, s43
	s_cbranch_execz .LBB8_672
.LBB8_649:                              ;   Parent Loop BB8_77 Depth=1
                                        ; =>  This Inner Loop Header: Depth=2
	s_add_co_i32 s46, s46, 1
	s_delay_alu instid0(SALU_CYCLE_1) | instskip(SKIP_1) | instid1(SALU_CYCLE_1)
	s_cmp_lg_u32 s46, 0x2710
	s_cselect_b32 s47, -1, 0
	s_and_b32 vcc_lo, exec_lo, s47
	s_cbranch_vccz .LBB8_651
; %bb.650:                              ;   in Loop: Header=BB8_649 Depth=2
	s_mov_b32 s57, -1
	s_or_b32 s45, s45, exec_lo
	s_and_saveexec_b32 s56, s47
	s_cbranch_execz .LBB8_648
	s_branch .LBB8_652
.LBB8_651:                              ;   in Loop: Header=BB8_649 Depth=2
	s_trap 2
	ds_load_b64 v[10:11], v0
	s_and_not1_b32 s47, s47, exec_lo
	s_mov_b32 s46, 0
	s_wait_loadcnt_dscnt 0x0
	flat_load_b32 v10, v[10:11] scope:SCOPE_SYS
	s_wait_loadcnt_dscnt 0x0
	global_inv scope:SCOPE_SYS
	v_cmp_eq_u32_e32 vcc_lo, 0, v10
	s_and_b32 s56, vcc_lo, exec_lo
	s_delay_alu instid0(SALU_CYCLE_1)
	s_or_b32 s47, s47, s56
	s_mov_b32 s57, -1
	s_or_b32 s45, s45, exec_lo
	s_and_saveexec_b32 s56, s47
	s_cbranch_execz .LBB8_648
.LBB8_652:                              ;   in Loop: Header=BB8_649 Depth=2
	s_sleep 1
	s_trap 2
	ds_load_b64 v[10:11], v0
	s_wait_dscnt 0x0
	s_and_not1_b32 s45, s45, exec_lo
	v_cmp_ge_u64_e32 vcc_lo, v[10:11], v[26:27]
	s_or_not1_b32 s57, vcc_lo, exec_lo
	s_branch .LBB8_648
.LBB8_653:                              ;   in Loop: Header=BB8_77 Depth=1
	s_or_b32 exec_lo, exec_lo, s42
	s_and_saveexec_b32 s42, s43
	s_delay_alu instid0(SALU_CYCLE_1)
	s_xor_b32 s42, exec_lo, s42
	s_cbranch_execz .LBB8_655
; %bb.654:                              ;   in Loop: Header=BB8_77 Depth=1
	ds_store_b32 v0, v116
	s_trap 2
.LBB8_655:                              ;   in Loop: Header=BB8_77 Depth=1
	s_or_b32 exec_lo, exec_lo, s40
	;;#ASMSTART
	s_wakeup
	;;#ASMEND
.LBB8_656:                              ;   in Loop: Header=BB8_77 Depth=1
	s_or_b32 exec_lo, exec_lo, s21
.LBB8_657:                              ;   in Loop: Header=BB8_77 Depth=1
	s_and_not1_saveexec_b32 s20, s20
	s_cbranch_execz .LBB8_659
; %bb.658:                              ;   in Loop: Header=BB8_77 Depth=1
	global_wb scope:SCOPE_DEV
	s_wait_storecnt 0x0
	s_wait_loadcnt_dscnt 0x0
	global_inv scope:SCOPE_DEV
	s_barrier_signal -1
	s_barrier_wait -1
.LBB8_659:                              ;   in Loop: Header=BB8_77 Depth=1
	s_or_b32 exec_lo, exec_lo, s20
.LBB8_660:                              ;   in Loop: Header=BB8_77 Depth=1
	s_delay_alu instid0(SALU_CYCLE_1) | instskip(SKIP_3) | instid1(VALU_DEP_1)
	s_or_b32 exec_lo, exec_lo, s16
	s_trap 2
	ds_load_b32 v85, v0
	v_and_b32_e32 v10, 0x4000, v114
	v_cmp_ne_u32_e32 vcc_lo, 0, v10
	s_and_b32 s20, s29, vcc_lo
	s_delay_alu instid0(SALU_CYCLE_1)
	s_and_saveexec_b32 s16, s20
	s_cbranch_execz .LBB8_698
; %bb.661:                              ;   in Loop: Header=BB8_77 Depth=1
	s_and_saveexec_b32 s20, s4
	s_delay_alu instid0(SALU_CYCLE_1)
	s_xor_b32 s20, exec_lo, s20
	s_cbranch_execz .LBB8_695
; %bb.662:                              ;   in Loop: Header=BB8_77 Depth=1
	s_and_saveexec_b32 s21, s7
	s_cbranch_execz .LBB8_694
; %bb.663:                              ;   in Loop: Header=BB8_77 Depth=1
	s_mov_b32 s42, exec_lo
	s_mov_b32 s40, exec_lo
	v_mbcnt_lo_u32_b32 v10, s42, 0
	global_wb scope:SCOPE_DEV
	s_wait_storecnt 0x0
	s_wait_loadcnt_dscnt 0x0
	global_inv scope:SCOPE_DEV
	v_cmpx_eq_u32_e32 0, v10
	s_cbranch_execz .LBB8_665
; %bb.664:                              ;   in Loop: Header=BB8_77 Depth=1
	s_bcnt1_i32_b32 s42, s42
	s_delay_alu instid0(SALU_CYCLE_1)
	v_mov_b32_e32 v34, s42
	s_wait_loadcnt 0x0
	ds_add_u64 v0, v[34:35]
	s_trap 2
.LBB8_665:                              ;   in Loop: Header=BB8_77 Depth=1
	s_or_b32 exec_lo, exec_lo, s40
	s_trap 2
	ds_load_b64 v[10:11], v0
	s_wait_dscnt 0x0
	v_add_nc_u64_e32 v[26:27], v[26:27], v[36:37]
	s_mov_b32 s40, exec_lo
	s_delay_alu instid0(VALU_DEP_1)
	v_cmpx_lt_u64_e64 v[10:11], v[26:27]
	s_cbranch_execz .LBB8_693
; %bb.666:                              ;   in Loop: Header=BB8_77 Depth=1
	s_mov_b32 s42, 0
	s_mov_b32 s45, 0
                                        ; implicit-def: $sgpr43
                                        ; implicit-def: $sgpr44
	s_branch .LBB8_668
.LBB8_667:                              ;   in Loop: Header=BB8_668 Depth=2
	s_or_b32 exec_lo, exec_lo, s47
	s_delay_alu instid0(SALU_CYCLE_1) | instskip(NEXT) | instid1(SALU_CYCLE_1)
	s_and_b32 s46, exec_lo, s56
	s_or_b32 s42, s46, s42
	s_and_not1_b32 s43, s43, exec_lo
	s_and_b32 s46, s44, exec_lo
	s_delay_alu instid0(SALU_CYCLE_1)
	s_or_b32 s43, s43, s46
	s_and_not1_b32 exec_lo, exec_lo, s42
	s_cbranch_execz .LBB8_691
.LBB8_668:                              ;   Parent Loop BB8_77 Depth=1
                                        ; =>  This Inner Loop Header: Depth=2
	s_add_co_i32 s45, s45, 1
	s_delay_alu instid0(SALU_CYCLE_1) | instskip(SKIP_1) | instid1(SALU_CYCLE_1)
	s_cmp_lg_u32 s45, 0x2710
	s_cselect_b32 s46, -1, 0
	s_and_b32 vcc_lo, exec_lo, s46
	s_cbranch_vccz .LBB8_670
; %bb.669:                              ;   in Loop: Header=BB8_668 Depth=2
	s_mov_b32 s56, -1
	s_or_b32 s44, s44, exec_lo
	s_and_saveexec_b32 s47, s46
	s_cbranch_execz .LBB8_667
	s_branch .LBB8_671
.LBB8_670:                              ;   in Loop: Header=BB8_668 Depth=2
	s_trap 2
	ds_load_b64 v[10:11], v0
	s_and_not1_b32 s46, s46, exec_lo
	s_mov_b32 s45, 0
	s_wait_loadcnt_dscnt 0x0
	flat_load_b32 v10, v[10:11] scope:SCOPE_SYS
	s_wait_loadcnt_dscnt 0x0
	global_inv scope:SCOPE_SYS
	v_cmp_eq_u32_e32 vcc_lo, 0, v10
	s_and_b32 s47, vcc_lo, exec_lo
	s_delay_alu instid0(SALU_CYCLE_1)
	s_or_b32 s46, s46, s47
	s_mov_b32 s56, -1
	s_or_b32 s44, s44, exec_lo
	s_and_saveexec_b32 s47, s46
	s_cbranch_execz .LBB8_667
.LBB8_671:                              ;   in Loop: Header=BB8_668 Depth=2
	s_sleep 1
	s_trap 2
	ds_load_b64 v[10:11], v0
	s_wait_dscnt 0x0
	s_and_not1_b32 s44, s44, exec_lo
	v_cmp_ge_u64_e32 vcc_lo, v[10:11], v[26:27]
	s_or_not1_b32 s56, vcc_lo, exec_lo
	s_branch .LBB8_667
.LBB8_672:                              ;   in Loop: Header=BB8_77 Depth=1
	s_or_b32 exec_lo, exec_lo, s43
	s_and_saveexec_b32 s43, s44
	s_delay_alu instid0(SALU_CYCLE_1)
	s_xor_b32 s43, exec_lo, s43
	s_cbranch_execz .LBB8_674
; %bb.673:                              ;   in Loop: Header=BB8_77 Depth=1
	ds_store_b32 v0, v116
	s_trap 2
.LBB8_674:                              ;   in Loop: Header=BB8_77 Depth=1
	s_or_b32 exec_lo, exec_lo, s42
	;;#ASMSTART
	s_wakeup
	;;#ASMEND
.LBB8_675:                              ;   in Loop: Header=BB8_77 Depth=1
	s_or_b32 exec_lo, exec_lo, s21
.LBB8_676:                              ;   in Loop: Header=BB8_77 Depth=1
	s_and_not1_saveexec_b32 s20, s20
	s_cbranch_execz .LBB8_678
; %bb.677:                              ;   in Loop: Header=BB8_77 Depth=1
	global_wb scope:SCOPE_DEV
	s_wait_storecnt 0x0
	s_wait_loadcnt_dscnt 0x0
	global_inv scope:SCOPE_DEV
	s_barrier_signal -1
	s_barrier_wait -1
.LBB8_678:                              ;   in Loop: Header=BB8_77 Depth=1
	s_or_b32 exec_lo, exec_lo, s20
.LBB8_679:                              ;   in Loop: Header=BB8_77 Depth=1
	s_delay_alu instid0(SALU_CYCLE_1) | instskip(SKIP_3) | instid1(VALU_DEP_1)
	s_or_b32 exec_lo, exec_lo, s15
	s_trap 2
	ds_load_b32 v85, v0
	v_and_b32_e32 v10, 0x4000, v114
	v_cmp_ne_u32_e32 vcc_lo, 0, v10
	s_and_b32 s20, s29, vcc_lo
	s_delay_alu instid0(SALU_CYCLE_1)
	s_and_saveexec_b32 s15, s20
	s_cbranch_execz .LBB8_751
; %bb.680:                              ;   in Loop: Header=BB8_77 Depth=1
	s_and_saveexec_b32 s20, s4
	s_delay_alu instid0(SALU_CYCLE_1)
	s_xor_b32 s20, exec_lo, s20
	s_cbranch_execz .LBB8_748
; %bb.681:                              ;   in Loop: Header=BB8_77 Depth=1
	s_and_saveexec_b32 s21, s7
	s_cbranch_execz .LBB8_747
; %bb.682:                              ;   in Loop: Header=BB8_77 Depth=1
	s_mov_b32 s43, exec_lo
	s_mov_b32 s42, exec_lo
	v_mbcnt_lo_u32_b32 v10, s43, 0
	global_wb scope:SCOPE_DEV
	s_wait_storecnt 0x0
	s_wait_loadcnt_dscnt 0x0
	global_inv scope:SCOPE_DEV
	v_cmpx_eq_u32_e32 0, v10
	s_cbranch_execz .LBB8_684
; %bb.683:                              ;   in Loop: Header=BB8_77 Depth=1
	s_bcnt1_i32_b32 s43, s43
	s_delay_alu instid0(SALU_CYCLE_1)
	v_mov_b32_e32 v34, s43
	s_wait_loadcnt 0x0
	ds_add_u64 v0, v[34:35]
	s_trap 2
.LBB8_684:                              ;   in Loop: Header=BB8_77 Depth=1
	s_or_b32 exec_lo, exec_lo, s42
	s_trap 2
	ds_load_b64 v[10:11], v0
	s_wait_dscnt 0x0
	v_add_nc_u64_e32 v[26:27], v[26:27], v[36:37]
	s_mov_b32 s42, exec_lo
	s_delay_alu instid0(VALU_DEP_1)
	v_cmpx_lt_u64_e64 v[10:11], v[26:27]
	s_cbranch_execz .LBB8_746
; %bb.685:                              ;   in Loop: Header=BB8_77 Depth=1
	s_mov_b32 s43, 0
	s_mov_b32 s46, 0
                                        ; implicit-def: $sgpr44
                                        ; implicit-def: $sgpr45
	s_branch .LBB8_687
.LBB8_686:                              ;   in Loop: Header=BB8_687 Depth=2
	s_or_b32 exec_lo, exec_lo, s56
	s_delay_alu instid0(SALU_CYCLE_1) | instskip(NEXT) | instid1(SALU_CYCLE_1)
	s_and_b32 s47, exec_lo, s57
	s_or_b32 s43, s47, s43
	s_and_not1_b32 s44, s44, exec_lo
	s_and_b32 s47, s45, exec_lo
	s_delay_alu instid0(SALU_CYCLE_1)
	s_or_b32 s44, s44, s47
	s_and_not1_b32 exec_lo, exec_lo, s43
	s_cbranch_execz .LBB8_744
.LBB8_687:                              ;   Parent Loop BB8_77 Depth=1
                                        ; =>  This Inner Loop Header: Depth=2
	s_add_co_i32 s46, s46, 1
	s_delay_alu instid0(SALU_CYCLE_1) | instskip(SKIP_1) | instid1(SALU_CYCLE_1)
	s_cmp_lg_u32 s46, 0x2710
	s_cselect_b32 s47, -1, 0
	s_and_b32 vcc_lo, exec_lo, s47
	s_cbranch_vccz .LBB8_689
; %bb.688:                              ;   in Loop: Header=BB8_687 Depth=2
	s_mov_b32 s57, -1
	s_or_b32 s45, s45, exec_lo
	s_and_saveexec_b32 s56, s47
	s_cbranch_execz .LBB8_686
	s_branch .LBB8_690
.LBB8_689:                              ;   in Loop: Header=BB8_687 Depth=2
	s_trap 2
	ds_load_b64 v[10:11], v0
	s_and_not1_b32 s47, s47, exec_lo
	s_mov_b32 s46, 0
	s_wait_loadcnt_dscnt 0x0
	flat_load_b32 v10, v[10:11] scope:SCOPE_SYS
	s_wait_loadcnt_dscnt 0x0
	global_inv scope:SCOPE_SYS
	v_cmp_eq_u32_e32 vcc_lo, 0, v10
	s_and_b32 s56, vcc_lo, exec_lo
	s_delay_alu instid0(SALU_CYCLE_1)
	s_or_b32 s47, s47, s56
	s_mov_b32 s57, -1
	s_or_b32 s45, s45, exec_lo
	s_and_saveexec_b32 s56, s47
	s_cbranch_execz .LBB8_686
.LBB8_690:                              ;   in Loop: Header=BB8_687 Depth=2
	s_sleep 1
	s_trap 2
	ds_load_b64 v[10:11], v0
	s_wait_dscnt 0x0
	s_and_not1_b32 s45, s45, exec_lo
	v_cmp_ge_u64_e32 vcc_lo, v[10:11], v[26:27]
	s_or_not1_b32 s57, vcc_lo, exec_lo
	s_branch .LBB8_686
.LBB8_691:                              ;   in Loop: Header=BB8_77 Depth=1
	s_or_b32 exec_lo, exec_lo, s42
	s_and_saveexec_b32 s42, s43
	s_delay_alu instid0(SALU_CYCLE_1)
	s_xor_b32 s42, exec_lo, s42
	s_cbranch_execz .LBB8_693
; %bb.692:                              ;   in Loop: Header=BB8_77 Depth=1
	ds_store_b32 v0, v116
	s_trap 2
.LBB8_693:                              ;   in Loop: Header=BB8_77 Depth=1
	s_or_b32 exec_lo, exec_lo, s40
	;;#ASMSTART
	s_wakeup
	;;#ASMEND
.LBB8_694:                              ;   in Loop: Header=BB8_77 Depth=1
	s_or_b32 exec_lo, exec_lo, s21
.LBB8_695:                              ;   in Loop: Header=BB8_77 Depth=1
	s_and_not1_saveexec_b32 s20, s20
	s_cbranch_execz .LBB8_697
; %bb.696:                              ;   in Loop: Header=BB8_77 Depth=1
	global_wb scope:SCOPE_DEV
	s_wait_storecnt 0x0
	s_wait_loadcnt_dscnt 0x0
	global_inv scope:SCOPE_DEV
	s_barrier_signal -1
	s_barrier_wait -1
.LBB8_697:                              ;   in Loop: Header=BB8_77 Depth=1
	s_or_b32 exec_lo, exec_lo, s20
.LBB8_698:                              ;   in Loop: Header=BB8_77 Depth=1
	s_delay_alu instid0(SALU_CYCLE_1)
	s_or_b32 exec_lo, exec_lo, s16
	s_trap 2
	ds_load_b64 v[10:11], v0
	v_min_i32_e32 v84, v84, v40
	s_wait_dscnt 0x0
	v_cmp_eq_u64_e32 vcc_lo, 0, v[10:11]
	s_cbranch_vccnz .LBB8_732
; %bb.699:                              ;   in Loop: Header=BB8_77 Depth=1
	s_trap 2
	ds_load_b64 v[12:13], v0
	s_wait_dscnt 0x0
	v_cmp_eq_u64_e32 vcc_lo, 0, v[12:13]
	s_cbranch_vccnz .LBB8_732
; %bb.700:                              ;   in Loop: Header=BB8_77 Depth=1
	s_mov_b32 s16, -1
	s_and_saveexec_b32 s20, s10
	s_cbranch_execz .LBB8_702
; %bb.701:                              ;   in Loop: Header=BB8_77 Depth=1
	ds_load_b32 v34, v0 offset:720
	s_wait_dscnt 0x0
	v_and_b32_e32 v34, 15, v34
	s_delay_alu instid0(VALU_DEP_1)
	v_cmp_eq_u32_e32 vcc_lo, 0, v34
	s_or_not1_b32 s16, vcc_lo, exec_lo
.LBB8_702:                              ;   in Loop: Header=BB8_77 Depth=1
	s_or_b32 exec_lo, exec_lo, s20
	s_and_saveexec_b32 s20, s13
	s_cbranch_execz .LBB8_704
; %bb.703:                              ;   in Loop: Header=BB8_77 Depth=1
	ds_load_b32 v34, v0 offset:784
	s_wait_dscnt 0x0
	v_and_b32_e32 v34, 15, v34
	s_delay_alu instid0(VALU_DEP_1) | instskip(SKIP_3) | instid1(SALU_CYCLE_1)
	v_cmp_eq_u32_e32 vcc_lo, 0, v34
	s_and_b32 s21, s16, vcc_lo
	s_and_not1_b32 s16, s16, exec_lo
	s_and_b32 s21, s21, exec_lo
	s_or_b32 s16, s16, s21
.LBB8_704:                              ;   in Loop: Header=BB8_77 Depth=1
	s_or_b32 exec_lo, exec_lo, s20
	v_cmp_eq_u32_e32 vcc_lo, 0, v85
	s_xor_b32 s16, s16, -1
	s_mov_b32 s21, -1
	v_cndmask_b32_e64 v86, 0, 1, s16
	v_dual_mov_b32 v85, 0 :: v_dual_cndmask_b32 v34, 0, v84
	v_mov_b32_e32 v97, v0
	s_delay_alu instid0(VALU_DEP_3) | instskip(NEXT) | instid1(VALU_DEP_3)
	v_cmp_ne_u32_e32 vcc_lo, 0, v86
	v_dual_mov_b32 v86, v118 :: v_dual_mov_b32 v96, v34
	s_cbranch_vccnz .LBB8_718
; %bb.705:                              ;   in Loop: Header=BB8_77 Depth=1
	v_ashrrev_i32_e32 v85, 31, v34
	s_mov_b32 s16, exec_lo
	s_delay_alu instid0(VALU_DEP_1) | instskip(NEXT) | instid1(VALU_DEP_1)
	v_lshrrev_b32_e32 v85, 21, v85
	v_add_nc_u32_e32 v85, v34, v85
	s_delay_alu instid0(VALU_DEP_1) | instskip(NEXT) | instid1(VALU_DEP_1)
	v_ashrrev_i32_e32 v85, 11, v85
	v_sub_nc_u32_e32 v99, v85, v118
	s_delay_alu instid0(VALU_DEP_1)
	v_cmpx_lt_i32_e32 0, v99
	s_cbranch_execz .LBB8_709
; %bb.706:                              ;   in Loop: Header=BB8_77 Depth=1
	v_mov_b64_e32 v[86:87], v[12:13]
	v_mov_b64_e32 v[96:97], v[10:11]
	s_mov_b32 s20, 0
.LBB8_707:                              ;   Parent Loop BB8_77 Depth=1
                                        ; =>  This Inner Loop Header: Depth=2
	s_delay_alu instid0(VALU_DEP_1)
	v_add_nc_u64_e32 v[112:113], v[82:83], v[96:97]
	v_sub_nc_u32_e32 v99, v99, v36
	v_add_nc_u64_e32 v[96:97], v[96:97], v[64:65]
	s_clause 0x3
	global_load_b128 v[100:103], v[112:113], off th:TH_LOAD_NT
	global_load_b128 v[42:45], v[112:113], off offset:512 th:TH_LOAD_NT
	global_load_b128 v[56:59], v[112:113], off offset:1024 th:TH_LOAD_NT
	;; [unrolled: 1-line block ×3, first 2 shown]
	s_wait_xcnt 0x0
	v_add_nc_u64_e32 v[112:113], v[82:83], v[86:87]
	v_cmp_gt_i32_e32 vcc_lo, 1, v99
	v_add_nc_u64_e32 v[86:87], v[86:87], v[64:65]
	s_wait_loadcnt 0x3
	global_store_b128 v[112:113], v[100:103], off th:TH_STORE_NT
	s_wait_loadcnt 0x2
	global_store_b128 v[112:113], v[42:45], off offset:512 th:TH_STORE_NT
	s_wait_loadcnt 0x1
	global_store_b128 v[112:113], v[56:59], off offset:1024 th:TH_STORE_NT
	;; [unrolled: 2-line block ×3, first 2 shown]
	s_or_b32 s20, vcc_lo, s20
	s_wait_xcnt 0x0
	s_and_not1_b32 exec_lo, exec_lo, s20
	s_cbranch_execnz .LBB8_707
; %bb.708:                              ;   in Loop: Header=BB8_77 Depth=1
	s_or_b32 exec_lo, exec_lo, s20
.LBB8_709:                              ;   in Loop: Header=BB8_77 Depth=1
	s_delay_alu instid0(SALU_CYCLE_1) | instskip(SKIP_3) | instid1(VALU_DEP_1)
	s_or_b32 exec_lo, exec_lo, s16
	v_dual_mov_b32 v85, 0 :: v_dual_lshlrev_b32 v98, 11, v85
	s_mov_b32 s21, 0
	s_mov_b32 s20, exec_lo
                                        ; implicit-def: $vgpr96
                                        ; implicit-def: $vgpr97
                                        ; implicit-def: $vgpr86
	v_cmpx_ne_u32_e64 v34, v98
	s_cbranch_execz .LBB8_717
; %bb.710:                              ;   in Loop: Header=BB8_77 Depth=1
	v_dual_lshlrev_b32 v85, 5, v99 :: v_dual_sub_nc_u32 v87, v34, v98
	s_mov_b32 s21, exec_lo
	s_delay_alu instid0(VALU_DEP_1) | instskip(NEXT) | instid1(VALU_DEP_1)
	v_dual_sub_nc_u32 v85, v119, v85 :: v_dual_ashrrev_i32 v96, 31, v87
	v_dual_ashrrev_i32 v86, 31, v85 :: v_dual_lshrrev_b32 v96, 23, v96
	s_delay_alu instid0(VALU_DEP_1) | instskip(NEXT) | instid1(VALU_DEP_1)
	v_lshrrev_b32_e32 v86, 27, v86
	v_add_nc_u32_e32 v86, v85, v86
	s_delay_alu instid0(VALU_DEP_1) | instskip(NEXT) | instid1(VALU_DEP_1)
	v_and_b32_e32 v97, 0xffffffe0, v86
	v_dual_add_nc_u32 v96, v87, v96 :: v_dual_sub_nc_u32 v100, v85, v97
	s_delay_alu instid0(VALU_DEP_1) | instskip(SKIP_1) | instid1(VALU_DEP_2)
	v_and_b32_e32 v99, 0xfffffe00, v96
	v_dual_ashrrev_i32 v97, 5, v86 :: v_dual_ashrrev_i32 v96, 9, v96
	v_dual_lshlrev_b32 v85, 4, v100 :: v_dual_sub_nc_u32 v101, v87, v99
	s_delay_alu instid0(VALU_DEP_1) | instskip(NEXT) | instid1(VALU_DEP_2)
	v_lshl_add_u32 v86, v97, 9, v85
	v_cmp_lt_i32_e32 vcc_lo, 15, v101
	s_delay_alu instid0(VALU_DEP_4) | instskip(NEXT) | instid1(VALU_DEP_1)
	v_add_co_ci_u32_e64 v96, null, 0, v96, vcc_lo
	v_dual_sub_nc_u32 v85, v87, v86 :: v_dual_sub_nc_u32 v102, v96, v97
	s_delay_alu instid0(VALU_DEP_1)
	v_cmpx_lt_i32_e32 15, v85
	s_cbranch_execz .LBB8_714
; %bb.711:                              ;   in Loop: Header=BB8_77 Depth=1
	v_add_nc_u32_e32 v86, v86, v98
	s_mov_b32 s40, 0
	s_delay_alu instid0(VALU_DEP_1)
	v_ashrrev_i32_e32 v87, 31, v86
.LBB8_712:                              ;   Parent Loop BB8_77 Depth=1
                                        ; =>  This Inner Loop Header: Depth=2
	s_delay_alu instid0(VALU_DEP_1) | instskip(SKIP_2) | instid1(VALU_DEP_2)
	v_add_nc_u64_e32 v[96:97], v[10:11], v[86:87]
	v_sub_nc_u32_e32 v85, v85, v52
	v_sub_nc_u32_e32 v102, v102, v36
	v_cmp_gt_i32_e64 s16, 16, v85
	global_load_b128 v[42:45], v[96:97], off th:TH_LOAD_NT
	s_wait_xcnt 0x0
	v_add_nc_u64_e32 v[96:97], v[12:13], v[86:87]
	v_add_nc_u64_e32 v[86:87], v[86:87], v[80:81]
	s_or_b32 s40, s16, s40
	s_wait_loadcnt 0x0
	global_store_b128 v[96:97], v[42:45], off th:TH_STORE_NT
	s_wait_xcnt 0x0
	s_and_not1_b32 exec_lo, exec_lo, s40
	s_cbranch_execnz .LBB8_712
; %bb.713:                              ;   in Loop: Header=BB8_77 Depth=1
	s_or_b32 exec_lo, exec_lo, s40
.LBB8_714:                              ;   in Loop: Header=BB8_77 Depth=1
	s_delay_alu instid0(SALU_CYCLE_1) | instskip(SKIP_3) | instid1(VALU_DEP_1)
	s_or_b32 exec_lo, exec_lo, s21
	v_dual_mov_b32 v85, 0 :: v_dual_bitop2_b32 v87, 15, v34 bitop3:0x40
	s_mov_b32 s21, 0
	s_mov_b32 s40, exec_lo
                                        ; implicit-def: $vgpr97
                                        ; implicit-def: $vgpr86
	v_cndmask_b32_e32 v96, v101, v87, vcc_lo
	s_delay_alu instid0(VALU_DEP_1)
	v_cmpx_ne_u32_e32 0, v96
	s_cbranch_execz .LBB8_716
; %bb.715:                              ;   in Loop: Header=BB8_77 Depth=1
	v_cmp_lt_i32_e64 s16, 0, v102
	s_mov_b32 s21, exec_lo
	v_dual_sub_nc_u32 v86, v101, v87 :: v_dual_cndmask_b32 v85, 0, v36, s16
	s_delay_alu instid0(VALU_DEP_1) | instskip(NEXT) | instid1(VALU_DEP_2)
	v_cndmask_b32_e32 v86, 0, v86, vcc_lo
	v_sub_nc_u32_e32 v85, v85, v102
	s_delay_alu instid0(VALU_DEP_1) | instskip(NEXT) | instid1(VALU_DEP_1)
	v_lshl_add_u32 v97, v85, 5, v100
	v_ashrrev_i32_e32 v85, 31, v97
	s_delay_alu instid0(VALU_DEP_1) | instskip(NEXT) | instid1(VALU_DEP_1)
	v_lshrrev_b32_e32 v85, 27, v85
	v_add_nc_u32_e32 v87, v97, v85
	v_add3_u32 v85, v99, v98, v86
	s_delay_alu instid0(VALU_DEP_2)
	v_ashrrev_i32_e32 v86, 5, v87
.LBB8_716:                              ;   in Loop: Header=BB8_77 Depth=1
	s_or_b32 exec_lo, exec_lo, s40
	s_delay_alu instid0(SALU_CYCLE_1)
	s_and_b32 s21, s21, exec_lo
.LBB8_717:                              ;   in Loop: Header=BB8_77 Depth=1
	s_or_b32 exec_lo, exec_lo, s20
.LBB8_718:                              ;   in Loop: Header=BB8_77 Depth=1
	s_and_saveexec_b32 s16, s21
	s_cbranch_execz .LBB8_727
; %bb.719:                              ;   in Loop: Header=BB8_77 Depth=1
	s_delay_alu instid0(VALU_DEP_1) | instskip(SKIP_1) | instid1(VALU_DEP_1)
	v_ashrrev_i32_e32 v87, 31, v96
	s_mov_b32 s20, exec_lo
	v_lshrrev_b32_e32 v87, 23, v87
	s_delay_alu instid0(VALU_DEP_1) | instskip(NEXT) | instid1(VALU_DEP_1)
	v_add_nc_u32_e32 v87, v96, v87
	v_dual_ashrrev_i32 v100, 9, v87 :: v_dual_ashrrev_i32 v87, 31, v97
	s_delay_alu instid0(VALU_DEP_1) | instskip(NEXT) | instid1(VALU_DEP_1)
	v_dual_sub_nc_u32 v98, v100, v86 :: v_dual_lshrrev_b32 v99, 27, v87
	v_cmpx_lt_i32_e32 0, v98
	s_cbranch_execz .LBB8_723
; %bb.720:                              ;   in Loop: Header=BB8_77 Depth=1
	s_delay_alu instid0(VALU_DEP_2) | instskip(SKIP_1) | instid1(VALU_DEP_1)
	v_dual_add_nc_u32 v87, v97, v99 :: v_dual_lshlrev_b32 v86, 9, v86
	s_mov_b32 s21, 0
	v_and_b32_e32 v87, 0xffffffe0, v87
	s_delay_alu instid0(VALU_DEP_1) | instskip(NEXT) | instid1(VALU_DEP_1)
	v_sub_nc_u32_e32 v87, v97, v87
	v_add3_u32 v86, v85, v87, v86
	s_delay_alu instid0(VALU_DEP_1)
	v_ashrrev_i32_e32 v87, 31, v86
.LBB8_721:                              ;   Parent Loop BB8_77 Depth=1
                                        ; =>  This Inner Loop Header: Depth=2
	s_delay_alu instid0(VALU_DEP_1)
	v_add_nc_u64_e32 v[102:103], v[86:87], v[10:11]
	v_sub_nc_u32_e32 v98, v98, v36
	v_add_nc_u64_e32 v[10:11], v[10:11], v[80:81]
	s_clause 0xf
	flat_load_u8 v101, v[102:103] th:TH_LOAD_NT
	flat_load_u8 v112, v[102:103] offset:32 th:TH_LOAD_NT
	flat_load_u8 v113, v[102:103] offset:64 th:TH_LOAD_NT
	flat_load_u8 v41, v[102:103] offset:96 th:TH_LOAD_NT
	flat_load_u8 v42, v[102:103] offset:128 th:TH_LOAD_NT
	flat_load_u8 v43, v[102:103] offset:160 th:TH_LOAD_NT
	flat_load_u8 v44, v[102:103] offset:192 th:TH_LOAD_NT
	flat_load_u8 v45, v[102:103] offset:224 th:TH_LOAD_NT
	flat_load_u8 v46, v[102:103] offset:256 th:TH_LOAD_NT
	flat_load_u8 v47, v[102:103] offset:288 th:TH_LOAD_NT
	flat_load_u8 v56, v[102:103] offset:320 th:TH_LOAD_NT
	flat_load_u8 v57, v[102:103] offset:352 th:TH_LOAD_NT
	flat_load_u8 v58, v[102:103] offset:384 th:TH_LOAD_NT
	flat_load_u8 v59, v[102:103] offset:416 th:TH_LOAD_NT
	flat_load_u8 v60, v[102:103] offset:448 th:TH_LOAD_NT
	flat_load_u8 v61, v[102:103] offset:480 th:TH_LOAD_NT
	s_wait_xcnt 0x0
	v_add_nc_u64_e32 v[102:103], v[86:87], v[12:13]
	v_add_nc_u64_e32 v[12:13], v[12:13], v[80:81]
	v_cmp_gt_i32_e32 vcc_lo, 1, v98
	s_wait_loadcnt_dscnt 0xf0f
	flat_store_b8 v[102:103], v101 th:TH_STORE_NT
	s_wait_loadcnt_dscnt 0xe0f
	flat_store_b8 v[102:103], v112 offset:32 th:TH_STORE_NT
	s_wait_loadcnt_dscnt 0xd0f
	flat_store_b8 v[102:103], v113 offset:64 th:TH_STORE_NT
	s_wait_loadcnt_dscnt 0xc0f
	flat_store_b8 v[102:103], v41 offset:96 th:TH_STORE_NT
	s_wait_loadcnt_dscnt 0xb0f
	flat_store_b8 v[102:103], v42 offset:128 th:TH_STORE_NT
	s_wait_loadcnt_dscnt 0xa0f
	flat_store_b8 v[102:103], v43 offset:160 th:TH_STORE_NT
	s_wait_loadcnt_dscnt 0x90f
	flat_store_b8 v[102:103], v44 offset:192 th:TH_STORE_NT
	s_wait_loadcnt_dscnt 0x80f
	flat_store_b8 v[102:103], v45 offset:224 th:TH_STORE_NT
	s_wait_loadcnt_dscnt 0x70f
	flat_store_b8 v[102:103], v46 offset:256 th:TH_STORE_NT
	s_wait_loadcnt_dscnt 0x60f
	flat_store_b8 v[102:103], v47 offset:288 th:TH_STORE_NT
	s_wait_loadcnt_dscnt 0x50f
	flat_store_b8 v[102:103], v56 offset:320 th:TH_STORE_NT
	s_wait_loadcnt_dscnt 0x40f
	flat_store_b8 v[102:103], v57 offset:352 th:TH_STORE_NT
	s_wait_loadcnt_dscnt 0x30f
	flat_store_b8 v[102:103], v58 offset:384 th:TH_STORE_NT
	s_wait_loadcnt_dscnt 0x20f
	flat_store_b8 v[102:103], v59 offset:416 th:TH_STORE_NT
	s_wait_loadcnt_dscnt 0x10f
	flat_store_b8 v[102:103], v60 offset:448 th:TH_STORE_NT
	s_wait_loadcnt_dscnt 0xf
	flat_store_b8 v[102:103], v61 offset:480 th:TH_STORE_NT
	s_or_b32 s21, vcc_lo, s21
	s_wait_xcnt 0x0
	s_and_not1_b32 exec_lo, exec_lo, s21
	s_cbranch_execnz .LBB8_721
; %bb.722:                              ;   in Loop: Header=BB8_77 Depth=1
	s_or_b32 exec_lo, exec_lo, s21
.LBB8_723:                              ;   in Loop: Header=BB8_77 Depth=1
	s_delay_alu instid0(SALU_CYCLE_1) | instskip(SKIP_1) | instid1(VALU_DEP_1)
	s_or_b32 exec_lo, exec_lo, s20
	v_lshlrev_b32_e32 v10, 9, v100
	v_cmp_ne_u32_e32 vcc_lo, v96, v10
	s_and_b32 exec_lo, exec_lo, vcc_lo
	s_cbranch_execz .LBB8_727
; %bb.724:                              ;   in Loop: Header=BB8_77 Depth=1
	v_dual_add_nc_u32 v11, v97, v99 :: v_dual_lshlrev_b32 v12, 5, v98
	s_delay_alu instid0(VALU_DEP_1) | instskip(NEXT) | instid1(VALU_DEP_1)
	v_and_b32_e32 v11, 0xffffffe0, v11
	v_sub_nc_u32_e32 v11, v97, v11
	s_delay_alu instid0(VALU_DEP_1) | instskip(NEXT) | instid1(VALU_DEP_1)
	v_sub_nc_u32_e32 v11, v11, v12
	v_add_nc_u32_e32 v12, v10, v11
	s_delay_alu instid0(VALU_DEP_1) | instskip(NEXT) | instid1(VALU_DEP_1)
	v_sub_nc_u32_e32 v86, v96, v12
	v_cmp_lt_i32_e32 vcc_lo, 0, v86
	s_and_b32 exec_lo, exec_lo, vcc_lo
	s_cbranch_execz .LBB8_727
; %bb.725:                              ;   in Loop: Header=BB8_77 Depth=1
	s_trap 2
	ds_load_b64 v[10:11], v0
	v_add_nc_u32_e32 v12, v12, v85
	s_mov_b32 s20, 0
	s_delay_alu instid0(VALU_DEP_1)
	v_ashrrev_i32_e32 v13, 31, v12
.LBB8_726:                              ;   Parent Loop BB8_77 Depth=1
                                        ; =>  This Inner Loop Header: Depth=2
	s_wait_dscnt 0x0
	s_delay_alu instid0(VALU_DEP_1) | instskip(SKIP_2) | instid1(VALU_DEP_2)
	v_add_nc_u64_e32 v[96:97], v[10:11], v[12:13]
	v_sub_nc_u32_e32 v86, v86, v1
	v_add_nc_u64_e32 v[12:13], v[12:13], v[70:71]
	v_cmp_gt_i32_e32 vcc_lo, 1, v86
	flat_load_u8 v85, v[96:97] th:TH_LOAD_NT
	s_or_b32 s20, vcc_lo, s20
	s_wait_loadcnt_dscnt 0x0
	flat_store_b8 v[96:97], v85 th:TH_STORE_NT
	s_wait_xcnt 0x0
	s_and_not1_b32 exec_lo, exec_lo, s20
	s_cbranch_execnz .LBB8_726
.LBB8_727:                              ;   in Loop: Header=BB8_77 Depth=1
	s_or_b32 exec_lo, exec_lo, s16
	v_cmp_lt_i32_e64 s16, 0, v34
	s_and_saveexec_b32 s20, s3
	s_cbranch_execnz .LBB8_733
.LBB8_728:                              ;   in Loop: Header=BB8_77 Depth=1
	s_or_b32 exec_lo, exec_lo, s20
	s_and_saveexec_b32 s20, s12
	s_delay_alu instid0(SALU_CYCLE_1)
	s_xor_b32 s20, exec_lo, s20
	s_cbranch_execz .LBB8_804
.LBB8_729:                              ;   in Loop: Header=BB8_77 Depth=1
	v_and_b32_e32 v10, 16, v114
	s_delay_alu instid0(VALU_DEP_1) | instskip(SKIP_1) | instid1(SALU_CYCLE_1)
	v_cmp_ne_u32_e32 vcc_lo, 0, v10
	s_and_b32 s21, vcc_lo, s16
	s_and_saveexec_b32 s16, s21
	s_cbranch_execz .LBB8_731
; %bb.730:                              ;   in Loop: Header=BB8_77 Depth=1
	global_wb scope:SCOPE_SYS
	s_wait_storecnt 0x0
	s_wait_loadcnt_dscnt 0x0
	global_inv scope:SCOPE_SYS
.LBB8_731:                              ;   in Loop: Header=BB8_77 Depth=1
	s_or_b32 exec_lo, exec_lo, s16
	s_and_not1_saveexec_b32 s16, s20
	s_cbranch_execz .LBB8_842
	s_branch .LBB8_805
.LBB8_732:                              ;   in Loop: Header=BB8_77 Depth=1
	s_mov_b32 s16, 0
	s_and_saveexec_b32 s20, s3
	s_cbranch_execz .LBB8_728
.LBB8_733:                              ;   in Loop: Header=BB8_77 Depth=1
	s_and_saveexec_b32 s21, s4
	s_delay_alu instid0(SALU_CYCLE_1)
	s_xor_b32 s21, exec_lo, s21
	s_cbranch_execz .LBB8_801
; %bb.734:                              ;   in Loop: Header=BB8_77 Depth=1
	s_and_saveexec_b32 s40, s7
	s_cbranch_execz .LBB8_800
; %bb.735:                              ;   in Loop: Header=BB8_77 Depth=1
	s_mov_b32 s43, exec_lo
	s_mov_b32 s42, exec_lo
	v_mbcnt_lo_u32_b32 v10, s43, 0
	global_wb scope:SCOPE_DEV
	s_wait_storecnt 0x0
	s_wait_loadcnt_dscnt 0x0
	global_inv scope:SCOPE_DEV
	v_cmpx_eq_u32_e32 0, v10
	s_cbranch_execz .LBB8_737
; %bb.736:                              ;   in Loop: Header=BB8_77 Depth=1
	s_bcnt1_i32_b32 s43, s43
	s_delay_alu instid0(SALU_CYCLE_1)
	v_mov_b32_e32 v34, s43
	s_wait_loadcnt 0x0
	ds_add_u64 v0, v[34:35]
	s_trap 2
.LBB8_737:                              ;   in Loop: Header=BB8_77 Depth=1
	s_or_b32 exec_lo, exec_lo, s42
	s_trap 2
	ds_load_b64 v[10:11], v0
	s_wait_dscnt 0x0
	v_add_nc_u64_e32 v[26:27], v[26:27], v[36:37]
	s_mov_b32 s42, exec_lo
	s_delay_alu instid0(VALU_DEP_1)
	v_cmpx_lt_u64_e64 v[10:11], v[26:27]
	s_cbranch_execz .LBB8_799
; %bb.738:                              ;   in Loop: Header=BB8_77 Depth=1
	s_mov_b32 s43, 0
	s_mov_b32 s46, 0
                                        ; implicit-def: $sgpr44
                                        ; implicit-def: $sgpr45
	s_branch .LBB8_740
.LBB8_739:                              ;   in Loop: Header=BB8_740 Depth=2
	s_or_b32 exec_lo, exec_lo, s56
	s_delay_alu instid0(SALU_CYCLE_1) | instskip(NEXT) | instid1(SALU_CYCLE_1)
	s_and_b32 s47, exec_lo, s57
	s_or_b32 s43, s47, s43
	s_and_not1_b32 s44, s44, exec_lo
	s_and_b32 s47, s45, exec_lo
	s_delay_alu instid0(SALU_CYCLE_1)
	s_or_b32 s44, s44, s47
	s_and_not1_b32 exec_lo, exec_lo, s43
	s_cbranch_execz .LBB8_797
.LBB8_740:                              ;   Parent Loop BB8_77 Depth=1
                                        ; =>  This Inner Loop Header: Depth=2
	s_add_co_i32 s46, s46, 1
	s_delay_alu instid0(SALU_CYCLE_1) | instskip(SKIP_1) | instid1(SALU_CYCLE_1)
	s_cmp_lg_u32 s46, 0x2710
	s_cselect_b32 s47, -1, 0
	s_and_b32 vcc_lo, exec_lo, s47
	s_cbranch_vccz .LBB8_742
; %bb.741:                              ;   in Loop: Header=BB8_740 Depth=2
	s_mov_b32 s57, -1
	s_or_b32 s45, s45, exec_lo
	s_and_saveexec_b32 s56, s47
	s_cbranch_execz .LBB8_739
	s_branch .LBB8_743
.LBB8_742:                              ;   in Loop: Header=BB8_740 Depth=2
	s_trap 2
	ds_load_b64 v[10:11], v0
	s_and_not1_b32 s47, s47, exec_lo
	s_mov_b32 s46, 0
	s_wait_loadcnt_dscnt 0x0
	flat_load_b32 v10, v[10:11] scope:SCOPE_SYS
	s_wait_loadcnt_dscnt 0x0
	global_inv scope:SCOPE_SYS
	v_cmp_eq_u32_e32 vcc_lo, 0, v10
	s_and_b32 s56, vcc_lo, exec_lo
	s_delay_alu instid0(SALU_CYCLE_1)
	s_or_b32 s47, s47, s56
	s_mov_b32 s57, -1
	s_or_b32 s45, s45, exec_lo
	s_and_saveexec_b32 s56, s47
	s_cbranch_execz .LBB8_739
.LBB8_743:                              ;   in Loop: Header=BB8_740 Depth=2
	s_sleep 1
	s_trap 2
	ds_load_b64 v[10:11], v0
	s_wait_dscnt 0x0
	s_and_not1_b32 s45, s45, exec_lo
	v_cmp_ge_u64_e32 vcc_lo, v[10:11], v[26:27]
	s_or_not1_b32 s57, vcc_lo, exec_lo
	s_branch .LBB8_739
.LBB8_744:                              ;   in Loop: Header=BB8_77 Depth=1
	s_or_b32 exec_lo, exec_lo, s43
	s_and_saveexec_b32 s43, s44
	s_delay_alu instid0(SALU_CYCLE_1)
	s_xor_b32 s43, exec_lo, s43
	s_cbranch_execz .LBB8_746
; %bb.745:                              ;   in Loop: Header=BB8_77 Depth=1
	ds_store_b32 v0, v116
	s_trap 2
.LBB8_746:                              ;   in Loop: Header=BB8_77 Depth=1
	s_or_b32 exec_lo, exec_lo, s42
	;;#ASMSTART
	s_wakeup
	;;#ASMEND
.LBB8_747:                              ;   in Loop: Header=BB8_77 Depth=1
	s_or_b32 exec_lo, exec_lo, s21
.LBB8_748:                              ;   in Loop: Header=BB8_77 Depth=1
	s_and_not1_saveexec_b32 s20, s20
	s_cbranch_execz .LBB8_750
; %bb.749:                              ;   in Loop: Header=BB8_77 Depth=1
	global_wb scope:SCOPE_DEV
	s_wait_storecnt 0x0
	s_wait_loadcnt_dscnt 0x0
	global_inv scope:SCOPE_DEV
	s_barrier_signal -1
	s_barrier_wait -1
.LBB8_750:                              ;   in Loop: Header=BB8_77 Depth=1
	s_or_b32 exec_lo, exec_lo, s20
.LBB8_751:                              ;   in Loop: Header=BB8_77 Depth=1
	s_delay_alu instid0(SALU_CYCLE_1)
	s_or_b32 exec_lo, exec_lo, s15
	s_trap 2
	ds_load_b64 v[10:11], v0
	s_wait_dscnt 0x0
	v_cmp_eq_u64_e32 vcc_lo, 0, v[10:11]
	s_cbranch_vccnz .LBB8_785
; %bb.752:                              ;   in Loop: Header=BB8_77 Depth=1
	s_trap 2
	ds_load_b64 v[12:13], v0
	s_wait_dscnt 0x0
	v_cmp_eq_u64_e32 vcc_lo, 0, v[12:13]
	s_cbranch_vccnz .LBB8_785
; %bb.753:                              ;   in Loop: Header=BB8_77 Depth=1
	s_mov_b32 s15, -1
	s_and_saveexec_b32 s20, s13
	s_cbranch_execz .LBB8_755
; %bb.754:                              ;   in Loop: Header=BB8_77 Depth=1
	ds_load_b32 v34, v0 offset:720
	s_wait_dscnt 0x0
	v_and_b32_e32 v34, 15, v34
	s_delay_alu instid0(VALU_DEP_1)
	v_cmp_eq_u32_e32 vcc_lo, 0, v34
	s_or_not1_b32 s15, vcc_lo, exec_lo
.LBB8_755:                              ;   in Loop: Header=BB8_77 Depth=1
	s_or_b32 exec_lo, exec_lo, s20
	s_and_saveexec_b32 s20, s10
	s_cbranch_execz .LBB8_757
; %bb.756:                              ;   in Loop: Header=BB8_77 Depth=1
	ds_load_b32 v34, v0 offset:784
	s_wait_dscnt 0x0
	v_and_b32_e32 v34, 15, v34
	s_delay_alu instid0(VALU_DEP_1) | instskip(SKIP_3) | instid1(SALU_CYCLE_1)
	v_cmp_eq_u32_e32 vcc_lo, 0, v34
	s_and_b32 s21, s15, vcc_lo
	s_and_not1_b32 s15, s15, exec_lo
	s_and_b32 s21, s21, exec_lo
	s_or_b32 s15, s15, s21
.LBB8_757:                              ;   in Loop: Header=BB8_77 Depth=1
	s_or_b32 exec_lo, exec_lo, s20
	v_cmp_eq_u32_e32 vcc_lo, 0, v85
	s_xor_b32 s15, s15, -1
	s_mov_b32 s21, -1
	v_cndmask_b32_e64 v86, 0, 1, s15
	v_dual_mov_b32 v85, 0 :: v_dual_cndmask_b32 v34, 0, v84
	v_mov_b32_e32 v97, v0
	s_delay_alu instid0(VALU_DEP_3) | instskip(NEXT) | instid1(VALU_DEP_3)
	v_cmp_ne_u32_e32 vcc_lo, 0, v86
	v_dual_mov_b32 v86, v118 :: v_dual_mov_b32 v96, v34
	s_cbranch_vccnz .LBB8_771
; %bb.758:                              ;   in Loop: Header=BB8_77 Depth=1
	v_ashrrev_i32_e32 v85, 31, v34
	s_mov_b32 s15, exec_lo
	s_delay_alu instid0(VALU_DEP_1) | instskip(NEXT) | instid1(VALU_DEP_1)
	v_lshrrev_b32_e32 v85, 21, v85
	v_add_nc_u32_e32 v85, v34, v85
	s_delay_alu instid0(VALU_DEP_1) | instskip(NEXT) | instid1(VALU_DEP_1)
	v_ashrrev_i32_e32 v85, 11, v85
	v_sub_nc_u32_e32 v99, v85, v118
	s_delay_alu instid0(VALU_DEP_1)
	v_cmpx_lt_i32_e32 0, v99
	s_cbranch_execz .LBB8_762
; %bb.759:                              ;   in Loop: Header=BB8_77 Depth=1
	v_mov_b64_e32 v[86:87], v[12:13]
	v_mov_b64_e32 v[96:97], v[10:11]
	s_mov_b32 s20, 0
.LBB8_760:                              ;   Parent Loop BB8_77 Depth=1
                                        ; =>  This Inner Loop Header: Depth=2
	s_delay_alu instid0(VALU_DEP_1)
	v_add_nc_u64_e32 v[112:113], v[82:83], v[96:97]
	v_sub_nc_u32_e32 v99, v99, v36
	v_add_nc_u64_e32 v[96:97], v[96:97], v[64:65]
	s_clause 0x3
	global_load_b128 v[100:103], v[112:113], off th:TH_LOAD_NT
	global_load_b128 v[42:45], v[112:113], off offset:512 th:TH_LOAD_NT
	global_load_b128 v[56:59], v[112:113], off offset:1024 th:TH_LOAD_NT
	;; [unrolled: 1-line block ×3, first 2 shown]
	s_wait_xcnt 0x0
	v_add_nc_u64_e32 v[112:113], v[82:83], v[86:87]
	v_cmp_gt_i32_e32 vcc_lo, 1, v99
	v_add_nc_u64_e32 v[86:87], v[86:87], v[64:65]
	s_wait_loadcnt 0x3
	global_store_b128 v[112:113], v[100:103], off th:TH_STORE_NT
	s_wait_loadcnt 0x2
	global_store_b128 v[112:113], v[42:45], off offset:512 th:TH_STORE_NT
	s_wait_loadcnt 0x1
	global_store_b128 v[112:113], v[56:59], off offset:1024 th:TH_STORE_NT
	;; [unrolled: 2-line block ×3, first 2 shown]
	s_or_b32 s20, vcc_lo, s20
	s_wait_xcnt 0x0
	s_and_not1_b32 exec_lo, exec_lo, s20
	s_cbranch_execnz .LBB8_760
; %bb.761:                              ;   in Loop: Header=BB8_77 Depth=1
	s_or_b32 exec_lo, exec_lo, s20
.LBB8_762:                              ;   in Loop: Header=BB8_77 Depth=1
	s_delay_alu instid0(SALU_CYCLE_1) | instskip(SKIP_3) | instid1(VALU_DEP_1)
	s_or_b32 exec_lo, exec_lo, s15
	v_dual_mov_b32 v85, 0 :: v_dual_lshlrev_b32 v98, 11, v85
	s_mov_b32 s21, 0
	s_mov_b32 s20, exec_lo
                                        ; implicit-def: $vgpr96
                                        ; implicit-def: $vgpr97
                                        ; implicit-def: $vgpr86
	v_cmpx_ne_u32_e64 v34, v98
	s_cbranch_execz .LBB8_770
; %bb.763:                              ;   in Loop: Header=BB8_77 Depth=1
	v_dual_lshlrev_b32 v85, 5, v99 :: v_dual_sub_nc_u32 v87, v34, v98
	s_mov_b32 s21, exec_lo
	s_delay_alu instid0(VALU_DEP_1) | instskip(NEXT) | instid1(VALU_DEP_1)
	v_dual_sub_nc_u32 v85, v119, v85 :: v_dual_ashrrev_i32 v96, 31, v87
	v_dual_ashrrev_i32 v86, 31, v85 :: v_dual_lshrrev_b32 v96, 23, v96
	s_delay_alu instid0(VALU_DEP_1) | instskip(NEXT) | instid1(VALU_DEP_1)
	v_lshrrev_b32_e32 v86, 27, v86
	v_add_nc_u32_e32 v86, v85, v86
	s_delay_alu instid0(VALU_DEP_1) | instskip(NEXT) | instid1(VALU_DEP_1)
	v_and_b32_e32 v97, 0xffffffe0, v86
	v_dual_add_nc_u32 v96, v87, v96 :: v_dual_sub_nc_u32 v100, v85, v97
	s_delay_alu instid0(VALU_DEP_1) | instskip(SKIP_1) | instid1(VALU_DEP_2)
	v_and_b32_e32 v99, 0xfffffe00, v96
	v_dual_ashrrev_i32 v97, 5, v86 :: v_dual_ashrrev_i32 v96, 9, v96
	v_dual_lshlrev_b32 v85, 4, v100 :: v_dual_sub_nc_u32 v101, v87, v99
	s_delay_alu instid0(VALU_DEP_1) | instskip(NEXT) | instid1(VALU_DEP_2)
	v_lshl_add_u32 v86, v97, 9, v85
	v_cmp_lt_i32_e32 vcc_lo, 15, v101
	s_delay_alu instid0(VALU_DEP_4) | instskip(NEXT) | instid1(VALU_DEP_1)
	v_add_co_ci_u32_e64 v96, null, 0, v96, vcc_lo
	v_dual_sub_nc_u32 v85, v87, v86 :: v_dual_sub_nc_u32 v102, v96, v97
	s_delay_alu instid0(VALU_DEP_1)
	v_cmpx_lt_i32_e32 15, v85
	s_cbranch_execz .LBB8_767
; %bb.764:                              ;   in Loop: Header=BB8_77 Depth=1
	v_add_nc_u32_e32 v86, v86, v98
	s_mov_b32 s42, 0
	s_delay_alu instid0(VALU_DEP_1)
	v_ashrrev_i32_e32 v87, 31, v86
.LBB8_765:                              ;   Parent Loop BB8_77 Depth=1
                                        ; =>  This Inner Loop Header: Depth=2
	s_delay_alu instid0(VALU_DEP_1) | instskip(SKIP_2) | instid1(VALU_DEP_2)
	v_add_nc_u64_e32 v[96:97], v[10:11], v[86:87]
	v_sub_nc_u32_e32 v85, v85, v52
	v_sub_nc_u32_e32 v102, v102, v36
	v_cmp_gt_i32_e64 s15, 16, v85
	global_load_b128 v[42:45], v[96:97], off th:TH_LOAD_NT
	s_wait_xcnt 0x0
	v_add_nc_u64_e32 v[96:97], v[12:13], v[86:87]
	v_add_nc_u64_e32 v[86:87], v[86:87], v[80:81]
	s_or_b32 s42, s15, s42
	s_wait_loadcnt 0x0
	global_store_b128 v[96:97], v[42:45], off th:TH_STORE_NT
	s_wait_xcnt 0x0
	s_and_not1_b32 exec_lo, exec_lo, s42
	s_cbranch_execnz .LBB8_765
; %bb.766:                              ;   in Loop: Header=BB8_77 Depth=1
	s_or_b32 exec_lo, exec_lo, s42
.LBB8_767:                              ;   in Loop: Header=BB8_77 Depth=1
	s_delay_alu instid0(SALU_CYCLE_1) | instskip(SKIP_3) | instid1(VALU_DEP_1)
	s_or_b32 exec_lo, exec_lo, s21
	v_dual_mov_b32 v85, 0 :: v_dual_bitop2_b32 v87, 15, v34 bitop3:0x40
	s_mov_b32 s21, 0
	s_mov_b32 s42, exec_lo
                                        ; implicit-def: $vgpr97
                                        ; implicit-def: $vgpr86
	v_cndmask_b32_e32 v96, v101, v87, vcc_lo
	s_delay_alu instid0(VALU_DEP_1)
	v_cmpx_ne_u32_e32 0, v96
	s_cbranch_execz .LBB8_769
; %bb.768:                              ;   in Loop: Header=BB8_77 Depth=1
	v_cmp_lt_i32_e64 s15, 0, v102
	s_mov_b32 s21, exec_lo
	v_dual_sub_nc_u32 v86, v101, v87 :: v_dual_cndmask_b32 v85, 0, v36, s15
	s_delay_alu instid0(VALU_DEP_1) | instskip(NEXT) | instid1(VALU_DEP_2)
	v_cndmask_b32_e32 v86, 0, v86, vcc_lo
	v_sub_nc_u32_e32 v85, v85, v102
	s_delay_alu instid0(VALU_DEP_1) | instskip(NEXT) | instid1(VALU_DEP_1)
	v_lshl_add_u32 v97, v85, 5, v100
	v_ashrrev_i32_e32 v85, 31, v97
	s_delay_alu instid0(VALU_DEP_1) | instskip(NEXT) | instid1(VALU_DEP_1)
	v_lshrrev_b32_e32 v85, 27, v85
	v_add_nc_u32_e32 v87, v97, v85
	v_add3_u32 v85, v99, v98, v86
	s_delay_alu instid0(VALU_DEP_2)
	v_ashrrev_i32_e32 v86, 5, v87
.LBB8_769:                              ;   in Loop: Header=BB8_77 Depth=1
	s_or_b32 exec_lo, exec_lo, s42
	s_delay_alu instid0(SALU_CYCLE_1)
	s_and_b32 s21, s21, exec_lo
.LBB8_770:                              ;   in Loop: Header=BB8_77 Depth=1
	s_or_b32 exec_lo, exec_lo, s20
.LBB8_771:                              ;   in Loop: Header=BB8_77 Depth=1
	s_and_saveexec_b32 s15, s21
	s_cbranch_execz .LBB8_780
; %bb.772:                              ;   in Loop: Header=BB8_77 Depth=1
	s_delay_alu instid0(VALU_DEP_1) | instskip(SKIP_1) | instid1(VALU_DEP_1)
	v_ashrrev_i32_e32 v87, 31, v96
	s_mov_b32 s20, exec_lo
	v_lshrrev_b32_e32 v87, 23, v87
	s_delay_alu instid0(VALU_DEP_1) | instskip(NEXT) | instid1(VALU_DEP_1)
	v_add_nc_u32_e32 v87, v96, v87
	v_dual_ashrrev_i32 v100, 9, v87 :: v_dual_ashrrev_i32 v87, 31, v97
	s_delay_alu instid0(VALU_DEP_1) | instskip(NEXT) | instid1(VALU_DEP_1)
	v_dual_sub_nc_u32 v98, v100, v86 :: v_dual_lshrrev_b32 v99, 27, v87
	v_cmpx_lt_i32_e32 0, v98
	s_cbranch_execz .LBB8_776
; %bb.773:                              ;   in Loop: Header=BB8_77 Depth=1
	s_delay_alu instid0(VALU_DEP_2) | instskip(SKIP_1) | instid1(VALU_DEP_1)
	v_dual_add_nc_u32 v87, v97, v99 :: v_dual_lshlrev_b32 v86, 9, v86
	s_mov_b32 s21, 0
	v_and_b32_e32 v87, 0xffffffe0, v87
	s_delay_alu instid0(VALU_DEP_1) | instskip(NEXT) | instid1(VALU_DEP_1)
	v_sub_nc_u32_e32 v87, v97, v87
	v_add3_u32 v86, v85, v87, v86
	s_delay_alu instid0(VALU_DEP_1)
	v_ashrrev_i32_e32 v87, 31, v86
.LBB8_774:                              ;   Parent Loop BB8_77 Depth=1
                                        ; =>  This Inner Loop Header: Depth=2
	s_delay_alu instid0(VALU_DEP_1)
	v_add_nc_u64_e32 v[102:103], v[86:87], v[10:11]
	v_sub_nc_u32_e32 v98, v98, v36
	v_add_nc_u64_e32 v[10:11], v[10:11], v[80:81]
	s_clause 0xf
	flat_load_u8 v101, v[102:103] th:TH_LOAD_NT
	flat_load_u8 v112, v[102:103] offset:32 th:TH_LOAD_NT
	flat_load_u8 v113, v[102:103] offset:64 th:TH_LOAD_NT
	;; [unrolled: 1-line block ×15, first 2 shown]
	s_wait_xcnt 0x0
	v_add_nc_u64_e32 v[102:103], v[86:87], v[12:13]
	v_add_nc_u64_e32 v[12:13], v[12:13], v[80:81]
	v_cmp_gt_i32_e32 vcc_lo, 1, v98
	s_wait_loadcnt_dscnt 0xf0f
	flat_store_b8 v[102:103], v101 th:TH_STORE_NT
	s_wait_loadcnt_dscnt 0xe0f
	flat_store_b8 v[102:103], v112 offset:32 th:TH_STORE_NT
	s_wait_loadcnt_dscnt 0xd0f
	flat_store_b8 v[102:103], v113 offset:64 th:TH_STORE_NT
	;; [unrolled: 2-line block ×15, first 2 shown]
	s_or_b32 s21, vcc_lo, s21
	s_wait_xcnt 0x0
	s_and_not1_b32 exec_lo, exec_lo, s21
	s_cbranch_execnz .LBB8_774
; %bb.775:                              ;   in Loop: Header=BB8_77 Depth=1
	s_or_b32 exec_lo, exec_lo, s21
.LBB8_776:                              ;   in Loop: Header=BB8_77 Depth=1
	s_delay_alu instid0(SALU_CYCLE_1) | instskip(SKIP_1) | instid1(VALU_DEP_1)
	s_or_b32 exec_lo, exec_lo, s20
	v_lshlrev_b32_e32 v10, 9, v100
	v_cmp_ne_u32_e32 vcc_lo, v96, v10
	s_and_b32 exec_lo, exec_lo, vcc_lo
	s_cbranch_execz .LBB8_780
; %bb.777:                              ;   in Loop: Header=BB8_77 Depth=1
	v_dual_add_nc_u32 v11, v97, v99 :: v_dual_lshlrev_b32 v12, 5, v98
	s_delay_alu instid0(VALU_DEP_1) | instskip(NEXT) | instid1(VALU_DEP_1)
	v_and_b32_e32 v11, 0xffffffe0, v11
	v_sub_nc_u32_e32 v11, v97, v11
	s_delay_alu instid0(VALU_DEP_1) | instskip(NEXT) | instid1(VALU_DEP_1)
	v_sub_nc_u32_e32 v11, v11, v12
	v_add_nc_u32_e32 v12, v10, v11
	s_delay_alu instid0(VALU_DEP_1) | instskip(NEXT) | instid1(VALU_DEP_1)
	v_sub_nc_u32_e32 v86, v96, v12
	v_cmp_lt_i32_e32 vcc_lo, 0, v86
	s_and_b32 exec_lo, exec_lo, vcc_lo
	s_cbranch_execz .LBB8_780
; %bb.778:                              ;   in Loop: Header=BB8_77 Depth=1
	s_trap 2
	ds_load_b64 v[10:11], v0
	v_add_nc_u32_e32 v12, v12, v85
	s_mov_b32 s20, 0
	s_delay_alu instid0(VALU_DEP_1)
	v_ashrrev_i32_e32 v13, 31, v12
.LBB8_779:                              ;   Parent Loop BB8_77 Depth=1
                                        ; =>  This Inner Loop Header: Depth=2
	s_wait_dscnt 0x0
	s_delay_alu instid0(VALU_DEP_1) | instskip(SKIP_2) | instid1(VALU_DEP_2)
	v_add_nc_u64_e32 v[96:97], v[10:11], v[12:13]
	v_sub_nc_u32_e32 v86, v86, v1
	v_add_nc_u64_e32 v[12:13], v[12:13], v[70:71]
	v_cmp_gt_i32_e32 vcc_lo, 1, v86
	flat_load_u8 v85, v[96:97] th:TH_LOAD_NT
	s_or_b32 s20, vcc_lo, s20
	s_wait_loadcnt_dscnt 0x0
	flat_store_b8 v[96:97], v85 th:TH_STORE_NT
	s_wait_xcnt 0x0
	s_and_not1_b32 exec_lo, exec_lo, s20
	s_cbranch_execnz .LBB8_779
.LBB8_780:                              ;   in Loop: Header=BB8_77 Depth=1
	s_or_b32 exec_lo, exec_lo, s15
	v_cmp_lt_i32_e64 s15, 0, v34
	s_and_saveexec_b32 s20, s3
	s_cbranch_execnz .LBB8_786
.LBB8_781:                              ;   in Loop: Header=BB8_77 Depth=1
	s_or_b32 exec_lo, exec_lo, s20
                                        ; implicit-def: $vgpr10
	s_and_saveexec_b32 s20, s12
	s_delay_alu instid0(SALU_CYCLE_1)
	s_xor_b32 s20, exec_lo, s20
	s_cbranch_execz .LBB8_823
.LBB8_782:                              ;   in Loop: Header=BB8_77 Depth=1
	v_and_b32_e32 v10, 16, v114
	s_delay_alu instid0(VALU_DEP_1) | instskip(SKIP_2) | instid1(SALU_CYCLE_1)
	v_cmp_ne_u32_e32 vcc_lo, 0, v10
	v_and_b32_e32 v10, 16, v114
	s_and_b32 s21, vcc_lo, s15
	s_and_saveexec_b32 s15, s21
	s_cbranch_execz .LBB8_784
; %bb.783:                              ;   in Loop: Header=BB8_77 Depth=1
	v_mov_b32_e32 v10, 1
	global_wb scope:SCOPE_SYS
	s_wait_storecnt 0x0
	s_wait_loadcnt_dscnt 0x0
	global_inv scope:SCOPE_SYS
.LBB8_784:                              ;   in Loop: Header=BB8_77 Depth=1
	s_or_b32 exec_lo, exec_lo, s15
	s_and_not1_saveexec_b32 s15, s20
	s_cbranch_execz .LBB8_891
	s_branch .LBB8_824
.LBB8_785:                              ;   in Loop: Header=BB8_77 Depth=1
	s_mov_b32 s15, 0
	s_and_saveexec_b32 s20, s3
	s_cbranch_execz .LBB8_781
.LBB8_786:                              ;   in Loop: Header=BB8_77 Depth=1
	s_and_saveexec_b32 s21, s4
	s_delay_alu instid0(SALU_CYCLE_1)
	s_xor_b32 s21, exec_lo, s21
	s_cbranch_execz .LBB8_820
; %bb.787:                              ;   in Loop: Header=BB8_77 Depth=1
	s_and_saveexec_b32 s42, s7
	s_cbranch_execz .LBB8_819
; %bb.788:                              ;   in Loop: Header=BB8_77 Depth=1
	s_mov_b32 s44, exec_lo
	s_mov_b32 s43, exec_lo
	v_mbcnt_lo_u32_b32 v10, s44, 0
	global_wb scope:SCOPE_DEV
	s_wait_storecnt 0x0
	s_wait_loadcnt_dscnt 0x0
	global_inv scope:SCOPE_DEV
	v_cmpx_eq_u32_e32 0, v10
	s_cbranch_execz .LBB8_790
; %bb.789:                              ;   in Loop: Header=BB8_77 Depth=1
	s_bcnt1_i32_b32 s44, s44
	s_delay_alu instid0(SALU_CYCLE_1)
	v_mov_b32_e32 v34, s44
	s_wait_loadcnt 0x0
	ds_add_u64 v0, v[34:35]
	s_trap 2
.LBB8_790:                              ;   in Loop: Header=BB8_77 Depth=1
	s_or_b32 exec_lo, exec_lo, s43
	s_trap 2
	ds_load_b64 v[10:11], v0
	s_wait_dscnt 0x0
	v_add_nc_u64_e32 v[26:27], v[26:27], v[36:37]
	s_mov_b32 s43, exec_lo
	s_delay_alu instid0(VALU_DEP_1)
	v_cmpx_lt_u64_e64 v[10:11], v[26:27]
	s_cbranch_execz .LBB8_818
; %bb.791:                              ;   in Loop: Header=BB8_77 Depth=1
	s_mov_b32 s44, 0
	s_mov_b32 s47, 0
                                        ; implicit-def: $sgpr45
                                        ; implicit-def: $sgpr46
	s_branch .LBB8_793
.LBB8_792:                              ;   in Loop: Header=BB8_793 Depth=2
	s_or_b32 exec_lo, exec_lo, s57
	s_delay_alu instid0(SALU_CYCLE_1) | instskip(NEXT) | instid1(SALU_CYCLE_1)
	s_and_b32 s56, exec_lo, s58
	s_or_b32 s44, s56, s44
	s_and_not1_b32 s45, s45, exec_lo
	s_and_b32 s56, s46, exec_lo
	s_delay_alu instid0(SALU_CYCLE_1)
	s_or_b32 s45, s45, s56
	s_and_not1_b32 exec_lo, exec_lo, s44
	s_cbranch_execz .LBB8_816
.LBB8_793:                              ;   Parent Loop BB8_77 Depth=1
                                        ; =>  This Inner Loop Header: Depth=2
	s_add_co_i32 s47, s47, 1
	s_delay_alu instid0(SALU_CYCLE_1) | instskip(SKIP_1) | instid1(SALU_CYCLE_1)
	s_cmp_lg_u32 s47, 0x2710
	s_cselect_b32 s56, -1, 0
	s_and_b32 vcc_lo, exec_lo, s56
	s_cbranch_vccz .LBB8_795
; %bb.794:                              ;   in Loop: Header=BB8_793 Depth=2
	s_mov_b32 s58, -1
	s_or_b32 s46, s46, exec_lo
	s_and_saveexec_b32 s57, s56
	s_cbranch_execz .LBB8_792
	s_branch .LBB8_796
.LBB8_795:                              ;   in Loop: Header=BB8_793 Depth=2
	s_trap 2
	ds_load_b64 v[10:11], v0
	s_and_not1_b32 s56, s56, exec_lo
	s_mov_b32 s47, 0
	s_wait_loadcnt_dscnt 0x0
	flat_load_b32 v10, v[10:11] scope:SCOPE_SYS
	s_wait_loadcnt_dscnt 0x0
	global_inv scope:SCOPE_SYS
	v_cmp_eq_u32_e32 vcc_lo, 0, v10
	s_and_b32 s57, vcc_lo, exec_lo
	s_delay_alu instid0(SALU_CYCLE_1)
	s_or_b32 s56, s56, s57
	s_mov_b32 s58, -1
	s_or_b32 s46, s46, exec_lo
	s_and_saveexec_b32 s57, s56
	s_cbranch_execz .LBB8_792
.LBB8_796:                              ;   in Loop: Header=BB8_793 Depth=2
	s_sleep 1
	s_trap 2
	ds_load_b64 v[10:11], v0
	s_wait_dscnt 0x0
	s_and_not1_b32 s46, s46, exec_lo
	v_cmp_ge_u64_e32 vcc_lo, v[10:11], v[26:27]
	s_or_not1_b32 s58, vcc_lo, exec_lo
	s_branch .LBB8_792
.LBB8_797:                              ;   in Loop: Header=BB8_77 Depth=1
	s_or_b32 exec_lo, exec_lo, s43
	s_and_saveexec_b32 s43, s44
	s_delay_alu instid0(SALU_CYCLE_1)
	s_xor_b32 s43, exec_lo, s43
	s_cbranch_execz .LBB8_799
; %bb.798:                              ;   in Loop: Header=BB8_77 Depth=1
	ds_store_b32 v0, v116
	s_trap 2
.LBB8_799:                              ;   in Loop: Header=BB8_77 Depth=1
	s_or_b32 exec_lo, exec_lo, s42
	;;#ASMSTART
	s_wakeup
	;;#ASMEND
.LBB8_800:                              ;   in Loop: Header=BB8_77 Depth=1
	s_or_b32 exec_lo, exec_lo, s40
.LBB8_801:                              ;   in Loop: Header=BB8_77 Depth=1
	s_and_not1_saveexec_b32 s21, s21
	s_cbranch_execz .LBB8_803
; %bb.802:                              ;   in Loop: Header=BB8_77 Depth=1
	global_wb scope:SCOPE_DEV
	s_wait_storecnt 0x0
	s_wait_loadcnt_dscnt 0x0
	global_inv scope:SCOPE_DEV
	s_barrier_signal -1
	s_barrier_wait -1
.LBB8_803:                              ;   in Loop: Header=BB8_77 Depth=1
	s_or_b32 exec_lo, exec_lo, s21
	s_delay_alu instid0(SALU_CYCLE_1) | instskip(SKIP_1) | instid1(SALU_CYCLE_1)
	s_or_b32 exec_lo, exec_lo, s20
	s_and_saveexec_b32 s20, s12
	s_xor_b32 s20, exec_lo, s20
	s_cbranch_execnz .LBB8_729
.LBB8_804:                              ;   in Loop: Header=BB8_77 Depth=1
	s_and_not1_saveexec_b32 s16, s20
	s_cbranch_execz .LBB8_842
.LBB8_805:                              ;   in Loop: Header=BB8_77 Depth=1
	s_and_saveexec_b32 s20, s4
	s_delay_alu instid0(SALU_CYCLE_1)
	s_xor_b32 s20, exec_lo, s20
	s_cbranch_execz .LBB8_839
; %bb.806:                              ;   in Loop: Header=BB8_77 Depth=1
	s_and_saveexec_b32 s21, s7
	s_cbranch_execz .LBB8_838
; %bb.807:                              ;   in Loop: Header=BB8_77 Depth=1
	s_mov_b32 s42, exec_lo
	s_mov_b32 s40, exec_lo
	v_mbcnt_lo_u32_b32 v10, s42, 0
	;;#ASMSTART
	s_waitcnt lgkmcnt(0) vmcnt(0)
	;;#ASMEND
	s_delay_alu instid0(VALU_DEP_1)
	v_cmpx_eq_u32_e32 0, v10
	s_cbranch_execz .LBB8_809
; %bb.808:                              ;   in Loop: Header=BB8_77 Depth=1
	s_bcnt1_i32_b32 s42, s42
	s_delay_alu instid0(SALU_CYCLE_1)
	v_mov_b32_e32 v34, s42
	s_wait_storecnt 0x0
	s_wait_loadcnt_dscnt 0x0
	ds_add_u64 v0, v[34:35]
	s_trap 2
.LBB8_809:                              ;   in Loop: Header=BB8_77 Depth=1
	s_or_b32 exec_lo, exec_lo, s40
	s_trap 2
	ds_load_b64 v[10:11], v0
	s_wait_dscnt 0x0
	v_add_nc_u64_e32 v[26:27], v[26:27], v[36:37]
	s_mov_b32 s40, exec_lo
	s_delay_alu instid0(VALU_DEP_1)
	v_cmpx_lt_u64_e64 v[10:11], v[26:27]
	s_cbranch_execz .LBB8_837
; %bb.810:                              ;   in Loop: Header=BB8_77 Depth=1
	s_mov_b32 s42, 0
	s_mov_b32 s45, 0
                                        ; implicit-def: $sgpr43
                                        ; implicit-def: $sgpr44
	s_branch .LBB8_812
.LBB8_811:                              ;   in Loop: Header=BB8_812 Depth=2
	s_or_b32 exec_lo, exec_lo, s47
	s_delay_alu instid0(SALU_CYCLE_1) | instskip(NEXT) | instid1(SALU_CYCLE_1)
	s_and_b32 s46, exec_lo, s56
	s_or_b32 s42, s46, s42
	s_and_not1_b32 s43, s43, exec_lo
	s_and_b32 s46, s44, exec_lo
	s_delay_alu instid0(SALU_CYCLE_1)
	s_or_b32 s43, s43, s46
	s_and_not1_b32 exec_lo, exec_lo, s42
	s_cbranch_execz .LBB8_835
.LBB8_812:                              ;   Parent Loop BB8_77 Depth=1
                                        ; =>  This Inner Loop Header: Depth=2
	s_add_co_i32 s45, s45, 1
	s_delay_alu instid0(SALU_CYCLE_1) | instskip(SKIP_1) | instid1(SALU_CYCLE_1)
	s_cmp_lg_u32 s45, 0x2710
	s_cselect_b32 s46, -1, 0
	s_and_b32 vcc_lo, exec_lo, s46
	s_cbranch_vccz .LBB8_814
; %bb.813:                              ;   in Loop: Header=BB8_812 Depth=2
	s_mov_b32 s56, -1
	s_or_b32 s44, s44, exec_lo
	s_and_saveexec_b32 s47, s46
	s_cbranch_execz .LBB8_811
	s_branch .LBB8_815
.LBB8_814:                              ;   in Loop: Header=BB8_812 Depth=2
	s_trap 2
	ds_load_b64 v[10:11], v0
	s_and_not1_b32 s46, s46, exec_lo
	s_mov_b32 s45, 0
	s_wait_storecnt 0x0
	s_wait_loadcnt_dscnt 0x0
	flat_load_b32 v10, v[10:11] scope:SCOPE_SYS
	s_wait_loadcnt_dscnt 0x0
	global_inv scope:SCOPE_SYS
	v_cmp_eq_u32_e32 vcc_lo, 0, v10
	s_and_b32 s47, vcc_lo, exec_lo
	s_delay_alu instid0(SALU_CYCLE_1)
	s_or_b32 s46, s46, s47
	s_mov_b32 s56, -1
	s_or_b32 s44, s44, exec_lo
	s_and_saveexec_b32 s47, s46
	s_cbranch_execz .LBB8_811
.LBB8_815:                              ;   in Loop: Header=BB8_812 Depth=2
	s_sleep 1
	s_trap 2
	ds_load_b64 v[10:11], v0
	s_wait_dscnt 0x0
	s_and_not1_b32 s44, s44, exec_lo
	v_cmp_ge_u64_e32 vcc_lo, v[10:11], v[26:27]
	s_or_not1_b32 s56, vcc_lo, exec_lo
	s_branch .LBB8_811
.LBB8_816:                              ;   in Loop: Header=BB8_77 Depth=1
	s_or_b32 exec_lo, exec_lo, s44
	s_and_saveexec_b32 s44, s45
	s_delay_alu instid0(SALU_CYCLE_1)
	s_xor_b32 s44, exec_lo, s44
	s_cbranch_execz .LBB8_818
; %bb.817:                              ;   in Loop: Header=BB8_77 Depth=1
	ds_store_b32 v0, v116
	s_trap 2
.LBB8_818:                              ;   in Loop: Header=BB8_77 Depth=1
	s_or_b32 exec_lo, exec_lo, s43
	;;#ASMSTART
	s_wakeup
	;;#ASMEND
.LBB8_819:                              ;   in Loop: Header=BB8_77 Depth=1
	s_or_b32 exec_lo, exec_lo, s42
.LBB8_820:                              ;   in Loop: Header=BB8_77 Depth=1
	s_and_not1_saveexec_b32 s21, s21
	s_cbranch_execz .LBB8_822
; %bb.821:                              ;   in Loop: Header=BB8_77 Depth=1
	global_wb scope:SCOPE_DEV
	s_wait_storecnt 0x0
	s_wait_loadcnt_dscnt 0x0
	global_inv scope:SCOPE_DEV
	s_barrier_signal -1
	s_barrier_wait -1
.LBB8_822:                              ;   in Loop: Header=BB8_77 Depth=1
	s_or_b32 exec_lo, exec_lo, s21
	s_delay_alu instid0(SALU_CYCLE_1) | instskip(SKIP_1) | instid1(SALU_CYCLE_1)
	s_or_b32 exec_lo, exec_lo, s20
                                        ; implicit-def: $vgpr10
	s_and_saveexec_b32 s20, s12
	s_xor_b32 s20, exec_lo, s20
	s_cbranch_execnz .LBB8_782
.LBB8_823:                              ;   in Loop: Header=BB8_77 Depth=1
	s_and_not1_saveexec_b32 s15, s20
	s_cbranch_execz .LBB8_891
.LBB8_824:                              ;   in Loop: Header=BB8_77 Depth=1
	s_and_saveexec_b32 s20, s4
	s_delay_alu instid0(SALU_CYCLE_1)
	s_xor_b32 s20, exec_lo, s20
	s_cbranch_execz .LBB8_888
; %bb.825:                              ;   in Loop: Header=BB8_77 Depth=1
	s_and_saveexec_b32 s21, s7
	s_cbranch_execz .LBB8_887
; %bb.826:                              ;   in Loop: Header=BB8_77 Depth=1
	s_mov_b32 s43, exec_lo
	s_mov_b32 s42, exec_lo
	v_mbcnt_lo_u32_b32 v10, s43, 0
	;;#ASMSTART
	s_waitcnt lgkmcnt(0) vmcnt(0)
	;;#ASMEND
	s_delay_alu instid0(VALU_DEP_1)
	v_cmpx_eq_u32_e32 0, v10
	s_cbranch_execz .LBB8_828
; %bb.827:                              ;   in Loop: Header=BB8_77 Depth=1
	s_bcnt1_i32_b32 s43, s43
	s_delay_alu instid0(SALU_CYCLE_1)
	v_mov_b32_e32 v34, s43
	s_wait_storecnt 0x0
	s_wait_loadcnt_dscnt 0x0
	ds_add_u64 v0, v[34:35]
	s_trap 2
.LBB8_828:                              ;   in Loop: Header=BB8_77 Depth=1
	s_or_b32 exec_lo, exec_lo, s42
	s_trap 2
	ds_load_b64 v[10:11], v0
	s_wait_dscnt 0x0
	v_add_nc_u64_e32 v[26:27], v[26:27], v[36:37]
	s_mov_b32 s42, exec_lo
	s_delay_alu instid0(VALU_DEP_1)
	v_cmpx_lt_u64_e64 v[10:11], v[26:27]
	s_cbranch_execz .LBB8_886
; %bb.829:                              ;   in Loop: Header=BB8_77 Depth=1
	s_mov_b32 s43, 0
	s_mov_b32 s46, 0
                                        ; implicit-def: $sgpr44
                                        ; implicit-def: $sgpr45
	s_branch .LBB8_831
.LBB8_830:                              ;   in Loop: Header=BB8_831 Depth=2
	s_or_b32 exec_lo, exec_lo, s56
	s_delay_alu instid0(SALU_CYCLE_1) | instskip(NEXT) | instid1(SALU_CYCLE_1)
	s_and_b32 s47, exec_lo, s57
	s_or_b32 s43, s47, s43
	s_and_not1_b32 s44, s44, exec_lo
	s_and_b32 s47, s45, exec_lo
	s_delay_alu instid0(SALU_CYCLE_1)
	s_or_b32 s44, s44, s47
	s_and_not1_b32 exec_lo, exec_lo, s43
	s_cbranch_execz .LBB8_884
.LBB8_831:                              ;   Parent Loop BB8_77 Depth=1
                                        ; =>  This Inner Loop Header: Depth=2
	s_add_co_i32 s46, s46, 1
	s_delay_alu instid0(SALU_CYCLE_1) | instskip(SKIP_1) | instid1(SALU_CYCLE_1)
	s_cmp_lg_u32 s46, 0x2710
	s_cselect_b32 s47, -1, 0
	s_and_b32 vcc_lo, exec_lo, s47
	s_cbranch_vccz .LBB8_833
; %bb.832:                              ;   in Loop: Header=BB8_831 Depth=2
	s_mov_b32 s57, -1
	s_or_b32 s45, s45, exec_lo
	s_and_saveexec_b32 s56, s47
	s_cbranch_execz .LBB8_830
	s_branch .LBB8_834
.LBB8_833:                              ;   in Loop: Header=BB8_831 Depth=2
	s_trap 2
	ds_load_b64 v[10:11], v0
	s_and_not1_b32 s47, s47, exec_lo
	s_mov_b32 s46, 0
	s_wait_storecnt 0x0
	s_wait_loadcnt_dscnt 0x0
	flat_load_b32 v10, v[10:11] scope:SCOPE_SYS
	s_wait_loadcnt_dscnt 0x0
	global_inv scope:SCOPE_SYS
	v_cmp_eq_u32_e32 vcc_lo, 0, v10
	s_and_b32 s56, vcc_lo, exec_lo
	s_delay_alu instid0(SALU_CYCLE_1)
	s_or_b32 s47, s47, s56
	s_mov_b32 s57, -1
	s_or_b32 s45, s45, exec_lo
	s_and_saveexec_b32 s56, s47
	s_cbranch_execz .LBB8_830
.LBB8_834:                              ;   in Loop: Header=BB8_831 Depth=2
	s_sleep 1
	s_trap 2
	ds_load_b64 v[10:11], v0
	s_wait_dscnt 0x0
	s_and_not1_b32 s45, s45, exec_lo
	v_cmp_ge_u64_e32 vcc_lo, v[10:11], v[26:27]
	s_or_not1_b32 s57, vcc_lo, exec_lo
	s_branch .LBB8_830
.LBB8_835:                              ;   in Loop: Header=BB8_77 Depth=1
	s_or_b32 exec_lo, exec_lo, s42
	s_and_saveexec_b32 s42, s43
	s_delay_alu instid0(SALU_CYCLE_1)
	s_xor_b32 s42, exec_lo, s42
	s_cbranch_execz .LBB8_837
; %bb.836:                              ;   in Loop: Header=BB8_77 Depth=1
	ds_store_b32 v0, v116
	s_trap 2
.LBB8_837:                              ;   in Loop: Header=BB8_77 Depth=1
	s_or_b32 exec_lo, exec_lo, s40
	;;#ASMSTART
	s_wakeup
	;;#ASMEND
.LBB8_838:                              ;   in Loop: Header=BB8_77 Depth=1
	s_or_b32 exec_lo, exec_lo, s21
.LBB8_839:                              ;   in Loop: Header=BB8_77 Depth=1
	s_and_not1_saveexec_b32 s20, s20
	s_cbranch_execz .LBB8_841
; %bb.840:                              ;   in Loop: Header=BB8_77 Depth=1
	;;#ASMSTART
	s_waitcnt lgkmcnt(0) vmcnt(0)
	;;#ASMEND
	s_barrier_signal -1
	s_barrier_wait -1
.LBB8_841:                              ;   in Loop: Header=BB8_77 Depth=1
	s_or_b32 exec_lo, exec_lo, s20
.LBB8_842:                              ;   in Loop: Header=BB8_77 Depth=1
	s_delay_alu instid0(SALU_CYCLE_1) | instskip(SKIP_2) | instid1(VALU_DEP_1)
	s_or_b32 exec_lo, exec_lo, s16
	v_and_b32_e32 v10, 32, v114
	s_mov_b32 s16, exec_lo
	v_cmpx_ne_u32_e32 0, v10
	s_cbranch_execz .LBB8_844
; %bb.843:                              ;   in Loop: Header=BB8_77 Depth=1
	v_add_nc_u64_e32 v[8:9], 1, v[8:9]
	global_wb scope:SCOPE_SYS
	s_wait_storecnt 0x0
	s_wait_loadcnt_dscnt 0x0
	flat_store_b64 v[20:21], v[8:9] scope:SCOPE_SYS
.LBB8_844:                              ;   in Loop: Header=BB8_77 Depth=1
	s_wait_xcnt 0x0
	s_or_b32 exec_lo, exec_lo, s16
	v_mov_b32_e32 v85, v84
.LBB8_845:                              ;   in Loop: Header=BB8_77 Depth=1
	s_or_b32 exec_lo, exec_lo, s19
	s_mov_b32 s16, s17
	s_and_saveexec_b32 s19, s14
	s_cbranch_execz .LBB8_995
; %bb.846:                              ;   in Loop: Header=BB8_77 Depth=1
	v_and_b32_e32 v10, 4, v114
	s_mov_b32 s20, exec_lo
	s_delay_alu instid0(VALU_DEP_1)
	v_cmpx_ne_u32_e32 0, v10
	s_cbranch_execz .LBB8_856
; %bb.847:                              ;   in Loop: Header=BB8_77 Depth=1
	v_add_nc_u64_e32 v[10:11], 1, v[8:9]
	s_mov_b32 s21, exec_lo
	s_wait_loadcnt_dscnt 0x1
	s_delay_alu instid0(VALU_DEP_1)
	v_cmpx_lt_u64_e64 v[32:33], v[10:11]
	s_cbranch_execz .LBB8_871
; %bb.848:                              ;   in Loop: Header=BB8_77 Depth=1
	v_and_b32_e32 v9, 64, v114
	s_mov_b32 s40, 0
	s_mov_b32 s45, 0
                                        ; implicit-def: $sgpr42
                                        ; implicit-def: $sgpr43
                                        ; implicit-def: $sgpr44
	s_delay_alu instid0(VALU_DEP_1)
	v_cmp_eq_u32_e32 vcc_lo, 0, v9
	s_branch .LBB8_852
.LBB8_849:                              ;   in Loop: Header=BB8_852 Depth=2
	s_wait_loadcnt_dscnt 0x0
	v_cmp_ge_u64_e64 s16, v[32:33], v[10:11]
	s_or_b32 s56, s56, exec_lo
	s_or_not1_b32 s47, s16, exec_lo
.LBB8_850:                              ;   in Loop: Header=BB8_852 Depth=2
	s_or_b32 exec_lo, exec_lo, s58
	s_delay_alu instid0(SALU_CYCLE_1)
	s_and_not1_b32 s16, s44, exec_lo
	s_and_b32 s44, s56, exec_lo
	s_and_not1_b32 s43, s43, exec_lo
	s_and_b32 s47, s47, exec_lo
	s_or_b32 s44, s16, s44
	s_or_b32 s43, s43, s47
.LBB8_851:                              ;   in Loop: Header=BB8_852 Depth=2
	s_or_b32 exec_lo, exec_lo, s46
	s_delay_alu instid0(SALU_CYCLE_1) | instskip(NEXT) | instid1(SALU_CYCLE_1)
	s_and_b32 s16, exec_lo, s43
	s_or_b32 s40, s16, s40
	s_and_not1_b32 s16, s42, exec_lo
	s_and_b32 s42, s44, exec_lo
	s_delay_alu instid0(SALU_CYCLE_1)
	s_or_b32 s42, s16, s42
	s_and_not1_b32 exec_lo, exec_lo, s40
	s_cbranch_execz .LBB8_868
.LBB8_852:                              ;   Parent Loop BB8_77 Depth=1
                                        ; =>  This Inner Loop Header: Depth=2
	s_sleep 1
	s_wait_loadcnt_dscnt 0x0
	flat_load_b64 v[32:33], v[20:21] scope:SCOPE_SYS
	s_or_b32 s44, s44, exec_lo
	s_or_b32 s43, s43, exec_lo
                                        ; implicit-def: $vgpr9
	s_wait_xcnt 0x0
	s_and_saveexec_b32 s46, vcc_lo
	s_cbranch_execz .LBB8_851
; %bb.853:                              ;   in Loop: Header=BB8_852 Depth=2
	s_cmp_lt_i32 s45, 0x270f
	s_mov_b32 s47, -1
	s_cselect_b32 s57, -1, 0
	s_cmp_gt_i32 s45, 0x270e
	s_cbranch_scc0 .LBB8_855
; %bb.854:                              ;   in Loop: Header=BB8_852 Depth=2
	s_trap 2
	ds_load_b64 v[12:13], v0
	s_and_not1_b32 s45, s57, exec_lo
	s_mov_b32 s56, 0
	s_wait_storecnt 0x0
	s_wait_loadcnt_dscnt 0x0
	flat_load_b32 v9, v[12:13] scope:SCOPE_SYS
	s_wait_loadcnt_dscnt 0x0
	global_inv scope:SCOPE_SYS
	v_cmp_eq_u32_e64 s16, 0, v9
	s_and_b32 s16, s16, exec_lo
	s_delay_alu instid0(SALU_CYCLE_1)
	s_or_b32 s57, s45, s16
	s_mov_b32 s45, 0
	s_and_saveexec_b32 s58, s57
	s_cbranch_execz .LBB8_850
	s_branch .LBB8_849
.LBB8_855:                              ;   in Loop: Header=BB8_852 Depth=2
	s_add_co_i32 s45, s45, 1
	s_mov_b32 s56, -1
                                        ; implicit-def: $vgpr9
	s_and_saveexec_b32 s58, s57
	s_cbranch_execz .LBB8_850
	s_branch .LBB8_849
.LBB8_856:                              ;   in Loop: Header=BB8_77 Depth=1
	s_or_b32 exec_lo, exec_lo, s20
	s_and_saveexec_b32 s16, s3
	s_cbranch_execz .LBB8_880
.LBB8_857:                              ;   in Loop: Header=BB8_77 Depth=1
	s_and_saveexec_b32 s20, s4
	s_delay_alu instid0(SALU_CYCLE_1)
	s_xor_b32 s20, exec_lo, s20
	s_cbranch_execz .LBB8_947
; %bb.858:                              ;   in Loop: Header=BB8_77 Depth=1
	s_and_saveexec_b32 s21, s7
	s_cbranch_execz .LBB8_946
; %bb.859:                              ;   in Loop: Header=BB8_77 Depth=1
	s_mov_b32 s42, exec_lo
	s_mov_b32 s40, exec_lo
	v_mbcnt_lo_u32_b32 v10, s42, 0
	global_wb scope:SCOPE_DEV
	s_wait_storecnt 0x0
	s_wait_loadcnt_dscnt 0x0
	global_inv scope:SCOPE_DEV
	v_cmpx_eq_u32_e32 0, v10
	s_cbranch_execz .LBB8_861
; %bb.860:                              ;   in Loop: Header=BB8_77 Depth=1
	s_bcnt1_i32_b32 s42, s42
	s_delay_alu instid0(SALU_CYCLE_1)
	v_mov_b32_e32 v34, s42
	s_wait_loadcnt 0x0
	ds_add_u64 v0, v[34:35]
	s_trap 2
.LBB8_861:                              ;   in Loop: Header=BB8_77 Depth=1
	s_or_b32 exec_lo, exec_lo, s40
	s_trap 2
	ds_load_b64 v[10:11], v0
	s_wait_dscnt 0x0
	v_add_nc_u64_e32 v[26:27], v[26:27], v[36:37]
	s_mov_b32 s40, exec_lo
	s_delay_alu instid0(VALU_DEP_1)
	v_cmpx_lt_u64_e64 v[10:11], v[26:27]
	s_cbranch_execz .LBB8_945
; %bb.862:                              ;   in Loop: Header=BB8_77 Depth=1
	s_mov_b32 s42, 0
	s_mov_b32 s45, 0
                                        ; implicit-def: $sgpr43
                                        ; implicit-def: $sgpr44
	s_branch .LBB8_864
.LBB8_863:                              ;   in Loop: Header=BB8_864 Depth=2
	s_or_b32 exec_lo, exec_lo, s47
	s_delay_alu instid0(SALU_CYCLE_1) | instskip(NEXT) | instid1(SALU_CYCLE_1)
	s_and_b32 s46, exec_lo, s56
	s_or_b32 s42, s46, s42
	s_and_not1_b32 s43, s43, exec_lo
	s_and_b32 s46, s44, exec_lo
	s_delay_alu instid0(SALU_CYCLE_1)
	s_or_b32 s43, s43, s46
	s_and_not1_b32 exec_lo, exec_lo, s42
	s_cbranch_execz .LBB8_943
.LBB8_864:                              ;   Parent Loop BB8_77 Depth=1
                                        ; =>  This Inner Loop Header: Depth=2
	s_add_co_i32 s45, s45, 1
	s_delay_alu instid0(SALU_CYCLE_1) | instskip(SKIP_1) | instid1(SALU_CYCLE_1)
	s_cmp_lg_u32 s45, 0x2710
	s_cselect_b32 s46, -1, 0
	s_and_b32 vcc_lo, exec_lo, s46
	s_cbranch_vccz .LBB8_866
; %bb.865:                              ;   in Loop: Header=BB8_864 Depth=2
	s_mov_b32 s56, -1
	s_or_b32 s44, s44, exec_lo
	s_and_saveexec_b32 s47, s46
	s_cbranch_execz .LBB8_863
	s_branch .LBB8_867
.LBB8_866:                              ;   in Loop: Header=BB8_864 Depth=2
	s_trap 2
	ds_load_b64 v[10:11], v0
	s_and_not1_b32 s46, s46, exec_lo
	s_mov_b32 s45, 0
	s_wait_loadcnt_dscnt 0x0
	flat_load_b32 v10, v[10:11] scope:SCOPE_SYS
	s_wait_loadcnt_dscnt 0x0
	global_inv scope:SCOPE_SYS
	v_cmp_eq_u32_e32 vcc_lo, 0, v10
	s_and_b32 s47, vcc_lo, exec_lo
	s_delay_alu instid0(SALU_CYCLE_1)
	s_or_b32 s46, s46, s47
	s_mov_b32 s56, -1
	s_or_b32 s44, s44, exec_lo
	s_and_saveexec_b32 s47, s46
	s_cbranch_execz .LBB8_863
.LBB8_867:                              ;   in Loop: Header=BB8_864 Depth=2
	s_sleep 1
	s_trap 2
	ds_load_b64 v[10:11], v0
	s_wait_dscnt 0x0
	s_and_not1_b32 s44, s44, exec_lo
	v_cmp_ge_u64_e32 vcc_lo, v[10:11], v[26:27]
	s_or_not1_b32 s56, vcc_lo, exec_lo
	s_branch .LBB8_863
.LBB8_868:                              ;   in Loop: Header=BB8_77 Depth=1
	s_or_b32 exec_lo, exec_lo, s40
	s_xor_b32 s16, s42, -1
	s_delay_alu instid0(SALU_CYCLE_1) | instskip(NEXT) | instid1(SALU_CYCLE_1)
	s_and_saveexec_b32 s40, s16
	s_xor_b32 s16, exec_lo, s40
	s_cbranch_execz .LBB8_870
; %bb.869:                              ;   in Loop: Header=BB8_77 Depth=1
	v_or_b32_e32 v114, 64, v114
	s_wait_storecnt 0x0
	s_wait_loadcnt_dscnt 0x0
	ds_store_b32 v0, v9
	s_trap 2
.LBB8_870:                              ;   in Loop: Header=BB8_77 Depth=1
	s_or_b32 exec_lo, exec_lo, s16
.LBB8_871:                              ;   in Loop: Header=BB8_77 Depth=1
	s_delay_alu instid0(SALU_CYCLE_1) | instskip(SKIP_4) | instid1(VALU_DEP_2)
	s_or_b32 exec_lo, exec_lo, s21
	v_and_b32_e32 v9, 0x100, v114
	v_and_b32_e32 v34, 7, v8
	s_mov_b32 s16, -1
	;;#ASMSTART
	s_wakeup
	;;#ASMEND
	v_cmp_ne_u32_e32 vcc_lo, 0, v9
                                        ; implicit-def: $vgpr8_vgpr9
	s_and_saveexec_b32 s21, vcc_lo
	s_cbranch_execz .LBB8_875
; %bb.872:                              ;   in Loop: Header=BB8_77 Depth=1
	v_mad_nc_u64_u32 v[12:13], v34, 24, v[6:7]
	flat_load_b32 v8, v[12:13]
	s_wait_loadcnt_dscnt 0x0
	v_cmp_eq_u32_e64 s16, 1, v8
	v_cmp_ne_u32_e32 vcc_lo, 1, v8
                                        ; implicit-def: $vgpr8_vgpr9
	s_wait_xcnt 0x0
	s_and_saveexec_b32 s40, s16
	s_cbranch_execz .LBB8_874
; %bb.873:                              ;   in Loop: Header=BB8_77 Depth=1
	flat_load_b32 v8, v[12:13] offset:4 scope:SCOPE_SYS
	s_wait_loadcnt_dscnt 0x0
	v_ashrrev_i32_e32 v9, 31, v8
.LBB8_874:                              ;   in Loop: Header=BB8_77 Depth=1
	s_wait_xcnt 0x0
	s_or_b32 exec_lo, exec_lo, s40
	s_delay_alu instid0(SALU_CYCLE_1)
	s_or_not1_b32 s16, vcc_lo, exec_lo
.LBB8_875:                              ;   in Loop: Header=BB8_77 Depth=1
	s_or_b32 exec_lo, exec_lo, s21
	s_and_saveexec_b32 s21, s16
; %bb.876:                              ;   in Loop: Header=BB8_77 Depth=1
	v_mul_u64_e32 v[8:9], v[34:35], v[22:23]
; %bb.877:                              ;   in Loop: Header=BB8_77 Depth=1
	s_or_b32 exec_lo, exec_lo, s21
	s_delay_alu instid0(VALU_DEP_1)
	v_add_nc_u64_e32 v[8:9], v[24:25], v[8:9]
	v_and_b32_e32 v12, 0x2000, v114
	s_mov_b32 s16, exec_lo
	ds_store_b64 v0, v[8:9] offset:720
	v_cmpx_ne_u32_e32 0, v12
	s_cbranch_execz .LBB8_879
; %bb.878:                              ;   in Loop: Header=BB8_77 Depth=1
	ds_load_b64 v[8:9], v0 offset:872
	s_wait_dscnt 0x0
	v_add_nc_u64_e32 v[8:9], 1, v[8:9]
	ds_store_b64 v0, v[8:9] offset:872
.LBB8_879:                              ;   in Loop: Header=BB8_77 Depth=1
	s_or_b32 exec_lo, exec_lo, s16
	v_mov_b64_e32 v[8:9], v[10:11]
	s_or_b32 exec_lo, exec_lo, s20
	s_and_saveexec_b32 s16, s3
	s_cbranch_execnz .LBB8_857
.LBB8_880:                              ;   in Loop: Header=BB8_77 Depth=1
	s_or_b32 exec_lo, exec_lo, s16
	s_and_saveexec_b32 s16, s12
	s_delay_alu instid0(SALU_CYCLE_1)
	s_xor_b32 s20, exec_lo, s16
	s_cbranch_execz .LBB8_950
.LBB8_881:                              ;   in Loop: Header=BB8_77 Depth=1
	s_trap 2
	ds_load_b32 v10, v0
	v_sub_nc_u32_e32 v11, v40, v85
	s_wait_dscnt 0x0
	v_readfirstlane_b32 s16, v10
	v_and_b32_e32 v10, 16, v114
	s_delay_alu instid0(VALU_DEP_3) | instskip(SKIP_1) | instid1(VALU_DEP_2)
	v_min_i32_e32 v11, v84, v11
	s_cmp_eq_u32 s16, 0
	v_cmp_ne_u32_e64 s16, 0, v10
	s_delay_alu instid0(VALU_DEP_2) | instskip(SKIP_1) | instid1(SALU_CYCLE_1)
	v_cmp_lt_i32_e32 vcc_lo, 0, v11
	s_cselect_b32 s21, -1, 0
	s_and_b32 s21, vcc_lo, s21
	s_delay_alu instid0(SALU_CYCLE_1) | instskip(NEXT) | instid1(SALU_CYCLE_1)
	s_and_b32 s21, s16, s21
	s_and_saveexec_b32 s16, s21
	s_cbranch_execz .LBB8_883
; %bb.882:                              ;   in Loop: Header=BB8_77 Depth=1
	global_wb scope:SCOPE_SYS
	s_wait_loadcnt 0x0
	s_wait_storecnt 0x0
	global_inv scope:SCOPE_SYS
.LBB8_883:                              ;   in Loop: Header=BB8_77 Depth=1
	s_or_b32 exec_lo, exec_lo, s16
	s_and_not1_saveexec_b32 s16, s20
	s_cbranch_execz .LBB8_994
	s_branch .LBB8_951
.LBB8_884:                              ;   in Loop: Header=BB8_77 Depth=1
	s_or_b32 exec_lo, exec_lo, s43
	s_and_saveexec_b32 s43, s44
	s_delay_alu instid0(SALU_CYCLE_1)
	s_xor_b32 s43, exec_lo, s43
	s_cbranch_execz .LBB8_886
; %bb.885:                              ;   in Loop: Header=BB8_77 Depth=1
	ds_store_b32 v0, v116
	s_trap 2
.LBB8_886:                              ;   in Loop: Header=BB8_77 Depth=1
	s_or_b32 exec_lo, exec_lo, s42
	;;#ASMSTART
	s_wakeup
	;;#ASMEND
.LBB8_887:                              ;   in Loop: Header=BB8_77 Depth=1
	s_or_b32 exec_lo, exec_lo, s21
.LBB8_888:                              ;   in Loop: Header=BB8_77 Depth=1
	s_and_not1_saveexec_b32 s20, s20
	s_cbranch_execz .LBB8_890
; %bb.889:                              ;   in Loop: Header=BB8_77 Depth=1
	;;#ASMSTART
	s_waitcnt lgkmcnt(0) vmcnt(0)
	;;#ASMEND
	s_barrier_signal -1
	s_barrier_wait -1
.LBB8_890:                              ;   in Loop: Header=BB8_77 Depth=1
	s_or_b32 exec_lo, exec_lo, s20
	v_and_b32_e32 v10, 16, v114
.LBB8_891:                              ;   in Loop: Header=BB8_77 Depth=1
	s_or_b32 exec_lo, exec_lo, s15
	s_delay_alu instid0(SALU_CYCLE_1) | instskip(NEXT) | instid1(VALU_DEP_1)
	s_mov_b32 s15, exec_lo
	v_cmpx_ne_u32_e32 0, v10
	s_cbranch_execz .LBB8_895
; %bb.892:                              ;   in Loop: Header=BB8_77 Depth=1
	s_and_saveexec_b32 s20, s6
	s_cbranch_execz .LBB8_894
; %bb.893:                              ;   in Loop: Header=BB8_77 Depth=1
	global_wb scope:SCOPE_SYS
	s_wait_storecnt 0x0
	s_wait_loadcnt_dscnt 0x0
	flat_store_b32 v[28:29], v116 scope:SCOPE_SYS
.LBB8_894:                              ;   in Loop: Header=BB8_77 Depth=1
	s_wait_xcnt 0x0
	s_or_b32 exec_lo, exec_lo, s20
	v_add_nc_u64_e32 v[8:9], 1, v[8:9]
	global_wb scope:SCOPE_SYS
	s_wait_storecnt 0x0
	s_wait_loadcnt_dscnt 0x0
	flat_store_b64 v[20:21], v[8:9] scope:SCOPE_SYS
.LBB8_895:                              ;   in Loop: Header=BB8_77 Depth=1
	s_wait_xcnt 0x0
	s_or_b32 exec_lo, exec_lo, s15
	v_mov_b32_e32 v12, v84
.LBB8_896:                              ;   in Loop: Header=BB8_77 Depth=1
	s_or_b32 exec_lo, exec_lo, s19
	s_mov_b32 s19, s17
	s_mov_b32 s20, s16
	s_and_saveexec_b32 s15, s14
	s_cbranch_execz .LBB8_983
; %bb.897:                              ;   in Loop: Header=BB8_77 Depth=1
	v_dual_sub_nc_u32 v10, v40, v12 :: v_dual_bitop2_b32 v11, 8, v114 bitop3:0x40
	s_mov_b32 s19, exec_lo
	s_delay_alu instid0(VALU_DEP_1) | instskip(NEXT) | instid1(VALU_DEP_2)
	v_min_i32_e32 v10, v84, v10
	v_cmpx_ne_u32_e32 0, v11
	s_cbranch_execz .LBB8_907
; %bb.898:                              ;   in Loop: Header=BB8_77 Depth=1
	s_wait_loadcnt_dscnt 0x1
	v_add_nc_u64_e32 v[84:85], 8, v[32:33]
	v_add_nc_u64_e32 v[12:13], 1, v[8:9]
	s_mov_b32 s20, exec_lo
	s_delay_alu instid0(VALU_DEP_1)
	v_cmpx_lt_u64_e64 v[84:85], v[12:13]
	s_cbranch_execz .LBB8_923
; %bb.899:                              ;   in Loop: Header=BB8_77 Depth=1
	v_and_b32_e32 v9, 64, v114
	s_mov_b32 s21, 0
	s_mov_b32 s45, 0
                                        ; implicit-def: $sgpr42
                                        ; implicit-def: $sgpr43
                                        ; implicit-def: $sgpr44
	s_delay_alu instid0(VALU_DEP_1)
	v_cmp_eq_u32_e32 vcc_lo, 0, v9
	s_branch .LBB8_903
.LBB8_900:                              ;   in Loop: Header=BB8_903 Depth=2
	s_wait_loadcnt_dscnt 0x0
	v_add_nc_u64_e32 v[84:85], 8, v[32:33]
	s_or_b32 s56, s56, exec_lo
	s_delay_alu instid0(VALU_DEP_1)
	v_cmp_ge_u64_e64 s14, v[84:85], v[12:13]
	s_or_not1_b32 s47, s14, exec_lo
.LBB8_901:                              ;   in Loop: Header=BB8_903 Depth=2
	s_or_b32 exec_lo, exec_lo, s58
	s_delay_alu instid0(SALU_CYCLE_1)
	s_and_not1_b32 s14, s44, exec_lo
	s_and_b32 s44, s56, exec_lo
	s_and_not1_b32 s43, s43, exec_lo
	s_and_b32 s47, s47, exec_lo
	s_or_b32 s44, s14, s44
	s_or_b32 s43, s43, s47
.LBB8_902:                              ;   in Loop: Header=BB8_903 Depth=2
	s_or_b32 exec_lo, exec_lo, s46
	s_delay_alu instid0(SALU_CYCLE_1) | instskip(NEXT) | instid1(SALU_CYCLE_1)
	s_and_b32 s14, exec_lo, s43
	s_or_b32 s21, s14, s21
	s_and_not1_b32 s14, s42, exec_lo
	s_and_b32 s42, s44, exec_lo
	s_delay_alu instid0(SALU_CYCLE_1)
	s_or_b32 s42, s14, s42
	s_and_not1_b32 exec_lo, exec_lo, s21
	s_cbranch_execz .LBB8_920
.LBB8_903:                              ;   Parent Loop BB8_77 Depth=1
                                        ; =>  This Inner Loop Header: Depth=2
	s_sleep 1
	s_wait_loadcnt_dscnt 0x0
	flat_load_b64 v[32:33], v[20:21] scope:SCOPE_SYS
	s_or_b32 s44, s44, exec_lo
	s_or_b32 s43, s43, exec_lo
                                        ; implicit-def: $vgpr9
	s_wait_xcnt 0x0
	s_and_saveexec_b32 s46, vcc_lo
	s_cbranch_execz .LBB8_902
; %bb.904:                              ;   in Loop: Header=BB8_903 Depth=2
	s_cmp_lt_i32 s45, 0x270f
	s_mov_b32 s47, -1
	s_cselect_b32 s57, -1, 0
	s_cmp_gt_i32 s45, 0x270e
	s_cbranch_scc0 .LBB8_906
; %bb.905:                              ;   in Loop: Header=BB8_903 Depth=2
	s_trap 2
	ds_load_b64 v[84:85], v0
	s_and_not1_b32 s45, s57, exec_lo
	s_mov_b32 s56, 0
	s_wait_storecnt 0x0
	s_wait_loadcnt_dscnt 0x0
	flat_load_b32 v9, v[84:85] scope:SCOPE_SYS
	s_wait_loadcnt_dscnt 0x0
	global_inv scope:SCOPE_SYS
	v_cmp_eq_u32_e64 s14, 0, v9
	s_and_b32 s14, s14, exec_lo
	s_delay_alu instid0(SALU_CYCLE_1)
	s_or_b32 s57, s45, s14
	s_mov_b32 s45, 0
	s_and_saveexec_b32 s58, s57
	s_cbranch_execz .LBB8_901
	s_branch .LBB8_900
.LBB8_906:                              ;   in Loop: Header=BB8_903 Depth=2
	s_add_co_i32 s45, s45, 1
	s_mov_b32 s56, -1
                                        ; implicit-def: $vgpr9
	s_and_saveexec_b32 s58, s57
	s_cbranch_execz .LBB8_901
	s_branch .LBB8_900
.LBB8_907:                              ;   in Loop: Header=BB8_77 Depth=1
	s_or_b32 exec_lo, exec_lo, s19
	s_and_saveexec_b32 s14, s3
	s_cbranch_execnz .LBB8_932
.LBB8_908:                              ;   in Loop: Header=BB8_77 Depth=1
	s_or_b32 exec_lo, exec_lo, s14
                                        ; implicit-def: $vgpr11
	s_and_saveexec_b32 s14, s28
	s_delay_alu instid0(SALU_CYCLE_1)
	s_xor_b32 s14, exec_lo, s14
	s_cbranch_execz .LBB8_976
.LBB8_909:                              ;   in Loop: Header=BB8_77 Depth=1
	s_and_saveexec_b32 s19, s4
	s_delay_alu instid0(SALU_CYCLE_1)
	s_xor_b32 s19, exec_lo, s19
	s_cbranch_execz .LBB8_966
; %bb.910:                              ;   in Loop: Header=BB8_77 Depth=1
	s_and_saveexec_b32 s20, s7
	s_cbranch_execz .LBB8_965
; %bb.911:                              ;   in Loop: Header=BB8_77 Depth=1
	s_mov_b32 s42, exec_lo
	s_mov_b32 s21, exec_lo
	v_mbcnt_lo_u32_b32 v10, s42, 0
	;;#ASMSTART
	s_waitcnt lgkmcnt(0) vmcnt(0)
	;;#ASMEND
	s_delay_alu instid0(VALU_DEP_1)
	v_cmpx_eq_u32_e32 0, v10
	s_cbranch_execz .LBB8_913
; %bb.912:                              ;   in Loop: Header=BB8_77 Depth=1
	s_bcnt1_i32_b32 s42, s42
	s_delay_alu instid0(SALU_CYCLE_1)
	v_mov_b32_e32 v34, s42
	s_wait_storecnt 0x0
	s_wait_loadcnt_dscnt 0x0
	ds_add_u64 v0, v[34:35]
	s_trap 2
.LBB8_913:                              ;   in Loop: Header=BB8_77 Depth=1
	s_or_b32 exec_lo, exec_lo, s21
	s_trap 2
	ds_load_b64 v[10:11], v0
	s_wait_dscnt 0x0
	v_add_nc_u64_e32 v[26:27], v[26:27], v[36:37]
	s_mov_b32 s21, exec_lo
	s_delay_alu instid0(VALU_DEP_1)
	v_cmpx_lt_u64_e64 v[10:11], v[26:27]
	s_cbranch_execz .LBB8_964
; %bb.914:                              ;   in Loop: Header=BB8_77 Depth=1
	s_mov_b32 s42, 0
	s_mov_b32 s45, 0
                                        ; implicit-def: $sgpr43
                                        ; implicit-def: $sgpr44
	s_branch .LBB8_916
.LBB8_915:                              ;   in Loop: Header=BB8_916 Depth=2
	s_or_b32 exec_lo, exec_lo, s47
	s_delay_alu instid0(SALU_CYCLE_1) | instskip(NEXT) | instid1(SALU_CYCLE_1)
	s_and_b32 s46, exec_lo, s56
	s_or_b32 s42, s46, s42
	s_and_not1_b32 s43, s43, exec_lo
	s_and_b32 s46, s44, exec_lo
	s_delay_alu instid0(SALU_CYCLE_1)
	s_or_b32 s43, s43, s46
	s_and_not1_b32 exec_lo, exec_lo, s42
	s_cbranch_execz .LBB8_962
.LBB8_916:                              ;   Parent Loop BB8_77 Depth=1
                                        ; =>  This Inner Loop Header: Depth=2
	s_add_co_i32 s45, s45, 1
	s_delay_alu instid0(SALU_CYCLE_1) | instskip(SKIP_1) | instid1(SALU_CYCLE_1)
	s_cmp_lg_u32 s45, 0x2710
	s_cselect_b32 s46, -1, 0
	s_and_b32 vcc_lo, exec_lo, s46
	s_cbranch_vccz .LBB8_918
; %bb.917:                              ;   in Loop: Header=BB8_916 Depth=2
	s_mov_b32 s56, -1
	s_or_b32 s44, s44, exec_lo
	s_and_saveexec_b32 s47, s46
	s_cbranch_execz .LBB8_915
	s_branch .LBB8_919
.LBB8_918:                              ;   in Loop: Header=BB8_916 Depth=2
	s_trap 2
	ds_load_b64 v[10:11], v0
	s_and_not1_b32 s46, s46, exec_lo
	s_mov_b32 s45, 0
	s_wait_storecnt 0x0
	s_wait_loadcnt_dscnt 0x0
	flat_load_b32 v10, v[10:11] scope:SCOPE_SYS
	s_wait_loadcnt_dscnt 0x0
	global_inv scope:SCOPE_SYS
	v_cmp_eq_u32_e32 vcc_lo, 0, v10
	s_and_b32 s47, vcc_lo, exec_lo
	s_delay_alu instid0(SALU_CYCLE_1)
	s_or_b32 s46, s46, s47
	s_mov_b32 s56, -1
	s_or_b32 s44, s44, exec_lo
	s_and_saveexec_b32 s47, s46
	s_cbranch_execz .LBB8_915
.LBB8_919:                              ;   in Loop: Header=BB8_916 Depth=2
	s_sleep 1
	s_trap 2
	ds_load_b64 v[10:11], v0
	s_wait_dscnt 0x0
	s_and_not1_b32 s44, s44, exec_lo
	v_cmp_ge_u64_e32 vcc_lo, v[10:11], v[26:27]
	s_or_not1_b32 s56, vcc_lo, exec_lo
	s_branch .LBB8_915
.LBB8_920:                              ;   in Loop: Header=BB8_77 Depth=1
	s_or_b32 exec_lo, exec_lo, s21
	s_xor_b32 s14, s42, -1
	s_delay_alu instid0(SALU_CYCLE_1) | instskip(NEXT) | instid1(SALU_CYCLE_1)
	s_and_saveexec_b32 s21, s14
	s_xor_b32 s14, exec_lo, s21
	s_cbranch_execz .LBB8_922
; %bb.921:                              ;   in Loop: Header=BB8_77 Depth=1
	v_or_b32_e32 v114, 64, v114
	s_wait_storecnt 0x0
	s_wait_loadcnt_dscnt 0x0
	ds_store_b32 v0, v9
	s_trap 2
.LBB8_922:                              ;   in Loop: Header=BB8_77 Depth=1
	s_or_b32 exec_lo, exec_lo, s14
.LBB8_923:                              ;   in Loop: Header=BB8_77 Depth=1
	s_delay_alu instid0(SALU_CYCLE_1) | instskip(SKIP_4) | instid1(VALU_DEP_2)
	s_or_b32 exec_lo, exec_lo, s20
	v_and_b32_e32 v9, 0x100, v114
	v_and_b32_e32 v34, 7, v8
	s_mov_b32 s14, -1
	;;#ASMSTART
	s_wakeup
	;;#ASMEND
	v_cmp_ne_u32_e32 vcc_lo, 0, v9
                                        ; implicit-def: $vgpr8_vgpr9
	s_and_saveexec_b32 s20, vcc_lo
	s_cbranch_execz .LBB8_927
; %bb.924:                              ;   in Loop: Header=BB8_77 Depth=1
	v_mad_nc_u64_u32 v[84:85], v34, 24, v[6:7]
	v_ashrrev_i32_e32 v11, 31, v10
	s_clause 0x1
	flat_load_b32 v8, v[84:85]
	flat_store_b64 v[84:85], v[10:11] offset:8
	s_wait_loadcnt_dscnt 0x1
	v_cmp_eq_u32_e64 s14, 1, v8
	v_cmp_ne_u32_e32 vcc_lo, 1, v8
                                        ; implicit-def: $vgpr8_vgpr9
	s_wait_xcnt 0x0
	s_and_saveexec_b32 s21, s14
	s_cbranch_execz .LBB8_926
; %bb.925:                              ;   in Loop: Header=BB8_77 Depth=1
	flat_load_b32 v8, v[84:85] offset:4 scope:SCOPE_SYS
	s_wait_loadcnt_dscnt 0x0
	v_ashrrev_i32_e32 v9, 31, v8
.LBB8_926:                              ;   in Loop: Header=BB8_77 Depth=1
	s_wait_xcnt 0x0
	s_or_b32 exec_lo, exec_lo, s21
	s_delay_alu instid0(SALU_CYCLE_1)
	s_or_not1_b32 s14, vcc_lo, exec_lo
.LBB8_927:                              ;   in Loop: Header=BB8_77 Depth=1
	s_or_b32 exec_lo, exec_lo, s20
	s_and_saveexec_b32 s20, s14
; %bb.928:                              ;   in Loop: Header=BB8_77 Depth=1
	v_mul_u64_e32 v[8:9], v[34:35], v[22:23]
; %bb.929:                              ;   in Loop: Header=BB8_77 Depth=1
	s_or_b32 exec_lo, exec_lo, s20
	s_delay_alu instid0(VALU_DEP_1)
	v_add_nc_u64_e32 v[8:9], v[24:25], v[8:9]
	v_and_b32_e32 v11, 0x2000, v114
	s_mov_b32 s14, exec_lo
	ds_store_b64 v0, v[8:9] offset:784
	v_cmpx_ne_u32_e32 0, v11
	s_cbranch_execz .LBB8_931
; %bb.930:                              ;   in Loop: Header=BB8_77 Depth=1
	ds_load_b64 v[8:9], v0 offset:872
	s_wait_dscnt 0x0
	v_add_nc_u64_e32 v[8:9], 1, v[8:9]
	ds_store_b64 v0, v[8:9] offset:872
.LBB8_931:                              ;   in Loop: Header=BB8_77 Depth=1
	s_or_b32 exec_lo, exec_lo, s14
	v_mov_b64_e32 v[8:9], v[12:13]
	s_or_b32 exec_lo, exec_lo, s19
	s_and_saveexec_b32 s14, s3
	s_cbranch_execz .LBB8_908
.LBB8_932:                              ;   in Loop: Header=BB8_77 Depth=1
	s_and_saveexec_b32 s19, s4
	s_delay_alu instid0(SALU_CYCLE_1)
	s_xor_b32 s19, exec_lo, s19
	s_cbranch_execz .LBB8_973
; %bb.933:                              ;   in Loop: Header=BB8_77 Depth=1
	s_and_saveexec_b32 s20, s7
	s_cbranch_execz .LBB8_972
; %bb.934:                              ;   in Loop: Header=BB8_77 Depth=1
	s_mov_b32 s42, exec_lo
	s_mov_b32 s21, exec_lo
	v_mbcnt_lo_u32_b32 v11, s42, 0
	global_wb scope:SCOPE_DEV
	s_wait_storecnt 0x0
	s_wait_loadcnt_dscnt 0x0
	global_inv scope:SCOPE_DEV
	v_cmpx_eq_u32_e32 0, v11
	s_cbranch_execz .LBB8_936
; %bb.935:                              ;   in Loop: Header=BB8_77 Depth=1
	s_bcnt1_i32_b32 s42, s42
	s_delay_alu instid0(SALU_CYCLE_1)
	v_mov_b32_e32 v34, s42
	s_wait_loadcnt 0x0
	ds_add_u64 v0, v[34:35]
	s_trap 2
.LBB8_936:                              ;   in Loop: Header=BB8_77 Depth=1
	s_or_b32 exec_lo, exec_lo, s21
	s_trap 2
	ds_load_b64 v[12:13], v0
	s_wait_dscnt 0x0
	v_add_nc_u64_e32 v[26:27], v[26:27], v[36:37]
	s_mov_b32 s21, exec_lo
	s_delay_alu instid0(VALU_DEP_1)
	v_cmpx_lt_u64_e64 v[12:13], v[26:27]
	s_cbranch_execz .LBB8_971
; %bb.937:                              ;   in Loop: Header=BB8_77 Depth=1
	s_mov_b32 s42, 0
	s_mov_b32 s45, 0
                                        ; implicit-def: $sgpr43
                                        ; implicit-def: $sgpr44
	s_branch .LBB8_939
.LBB8_938:                              ;   in Loop: Header=BB8_939 Depth=2
	s_or_b32 exec_lo, exec_lo, s47
	s_delay_alu instid0(SALU_CYCLE_1) | instskip(NEXT) | instid1(SALU_CYCLE_1)
	s_and_b32 s46, exec_lo, s56
	s_or_b32 s42, s46, s42
	s_and_not1_b32 s43, s43, exec_lo
	s_and_b32 s46, s44, exec_lo
	s_delay_alu instid0(SALU_CYCLE_1)
	s_or_b32 s43, s43, s46
	s_and_not1_b32 exec_lo, exec_lo, s42
	s_cbranch_execz .LBB8_969
.LBB8_939:                              ;   Parent Loop BB8_77 Depth=1
                                        ; =>  This Inner Loop Header: Depth=2
	s_add_co_i32 s45, s45, 1
	s_delay_alu instid0(SALU_CYCLE_1) | instskip(SKIP_1) | instid1(SALU_CYCLE_1)
	s_cmp_lg_u32 s45, 0x2710
	s_cselect_b32 s46, -1, 0
	s_and_b32 vcc_lo, exec_lo, s46
	s_cbranch_vccz .LBB8_941
; %bb.940:                              ;   in Loop: Header=BB8_939 Depth=2
	s_mov_b32 s56, -1
	s_or_b32 s44, s44, exec_lo
	s_and_saveexec_b32 s47, s46
	s_cbranch_execz .LBB8_938
	s_branch .LBB8_942
.LBB8_941:                              ;   in Loop: Header=BB8_939 Depth=2
	s_trap 2
	ds_load_b64 v[12:13], v0
	s_and_not1_b32 s46, s46, exec_lo
	s_mov_b32 s45, 0
	s_wait_loadcnt_dscnt 0x0
	flat_load_b32 v11, v[12:13] scope:SCOPE_SYS
	s_wait_loadcnt_dscnt 0x0
	global_inv scope:SCOPE_SYS
	v_cmp_eq_u32_e32 vcc_lo, 0, v11
	s_and_b32 s47, vcc_lo, exec_lo
	s_delay_alu instid0(SALU_CYCLE_1)
	s_or_b32 s46, s46, s47
	s_mov_b32 s56, -1
	s_or_b32 s44, s44, exec_lo
	s_and_saveexec_b32 s47, s46
	s_cbranch_execz .LBB8_938
.LBB8_942:                              ;   in Loop: Header=BB8_939 Depth=2
	s_sleep 1
	s_trap 2
	ds_load_b64 v[12:13], v0
	s_wait_dscnt 0x0
	s_and_not1_b32 s44, s44, exec_lo
	v_cmp_ge_u64_e32 vcc_lo, v[12:13], v[26:27]
	s_or_not1_b32 s56, vcc_lo, exec_lo
	s_branch .LBB8_938
.LBB8_943:                              ;   in Loop: Header=BB8_77 Depth=1
	s_or_b32 exec_lo, exec_lo, s42
	s_and_saveexec_b32 s42, s43
	s_delay_alu instid0(SALU_CYCLE_1)
	s_xor_b32 s42, exec_lo, s42
	s_cbranch_execz .LBB8_945
; %bb.944:                              ;   in Loop: Header=BB8_77 Depth=1
	ds_store_b32 v0, v116
	s_trap 2
.LBB8_945:                              ;   in Loop: Header=BB8_77 Depth=1
	s_or_b32 exec_lo, exec_lo, s40
	;;#ASMSTART
	s_wakeup
	;;#ASMEND
.LBB8_946:                              ;   in Loop: Header=BB8_77 Depth=1
	s_or_b32 exec_lo, exec_lo, s21
.LBB8_947:                              ;   in Loop: Header=BB8_77 Depth=1
	s_and_not1_saveexec_b32 s20, s20
	s_cbranch_execz .LBB8_949
; %bb.948:                              ;   in Loop: Header=BB8_77 Depth=1
	global_wb scope:SCOPE_DEV
	s_wait_storecnt 0x0
	s_wait_loadcnt_dscnt 0x0
	global_inv scope:SCOPE_DEV
	s_barrier_signal -1
	s_barrier_wait -1
.LBB8_949:                              ;   in Loop: Header=BB8_77 Depth=1
	s_or_b32 exec_lo, exec_lo, s20
	s_delay_alu instid0(SALU_CYCLE_1) | instskip(SKIP_1) | instid1(SALU_CYCLE_1)
	s_or_b32 exec_lo, exec_lo, s16
	s_and_saveexec_b32 s16, s12
	s_xor_b32 s20, exec_lo, s16
	s_cbranch_execnz .LBB8_881
.LBB8_950:                              ;   in Loop: Header=BB8_77 Depth=1
	s_and_not1_saveexec_b32 s16, s20
	s_cbranch_execz .LBB8_994
.LBB8_951:                              ;   in Loop: Header=BB8_77 Depth=1
	s_and_saveexec_b32 s20, s4
	s_delay_alu instid0(SALU_CYCLE_1)
	s_xor_b32 s20, exec_lo, s20
	s_cbranch_execz .LBB8_991
; %bb.952:                              ;   in Loop: Header=BB8_77 Depth=1
	s_and_saveexec_b32 s21, s7
	s_cbranch_execz .LBB8_990
; %bb.953:                              ;   in Loop: Header=BB8_77 Depth=1
	s_mov_b32 s42, exec_lo
	s_mov_b32 s40, exec_lo
	v_mbcnt_lo_u32_b32 v10, s42, 0
	;;#ASMSTART
	s_waitcnt lgkmcnt(0) vmcnt(0)
	;;#ASMEND
	s_delay_alu instid0(VALU_DEP_1)
	v_cmpx_eq_u32_e32 0, v10
	s_cbranch_execz .LBB8_955
; %bb.954:                              ;   in Loop: Header=BB8_77 Depth=1
	s_bcnt1_i32_b32 s42, s42
	s_delay_alu instid0(SALU_CYCLE_1)
	v_mov_b32_e32 v34, s42
	s_wait_storecnt 0x0
	s_wait_loadcnt_dscnt 0x0
	ds_add_u64 v0, v[34:35]
	s_trap 2
.LBB8_955:                              ;   in Loop: Header=BB8_77 Depth=1
	s_or_b32 exec_lo, exec_lo, s40
	s_trap 2
	ds_load_b64 v[10:11], v0
	s_wait_dscnt 0x0
	v_add_nc_u64_e32 v[26:27], v[26:27], v[36:37]
	s_mov_b32 s40, exec_lo
	s_delay_alu instid0(VALU_DEP_1)
	v_cmpx_lt_u64_e64 v[10:11], v[26:27]
	s_cbranch_execz .LBB8_989
; %bb.956:                              ;   in Loop: Header=BB8_77 Depth=1
	s_mov_b32 s42, 0
	s_mov_b32 s45, 0
                                        ; implicit-def: $sgpr43
                                        ; implicit-def: $sgpr44
	s_branch .LBB8_958
.LBB8_957:                              ;   in Loop: Header=BB8_958 Depth=2
	s_or_b32 exec_lo, exec_lo, s47
	s_delay_alu instid0(SALU_CYCLE_1) | instskip(NEXT) | instid1(SALU_CYCLE_1)
	s_and_b32 s46, exec_lo, s56
	s_or_b32 s42, s46, s42
	s_and_not1_b32 s43, s43, exec_lo
	s_and_b32 s46, s44, exec_lo
	s_delay_alu instid0(SALU_CYCLE_1)
	s_or_b32 s43, s43, s46
	s_and_not1_b32 exec_lo, exec_lo, s42
	s_cbranch_execz .LBB8_987
.LBB8_958:                              ;   Parent Loop BB8_77 Depth=1
                                        ; =>  This Inner Loop Header: Depth=2
	s_add_co_i32 s45, s45, 1
	s_delay_alu instid0(SALU_CYCLE_1) | instskip(SKIP_1) | instid1(SALU_CYCLE_1)
	s_cmp_lg_u32 s45, 0x2710
	s_cselect_b32 s46, -1, 0
	s_and_b32 vcc_lo, exec_lo, s46
	s_cbranch_vccz .LBB8_960
; %bb.959:                              ;   in Loop: Header=BB8_958 Depth=2
	s_mov_b32 s56, -1
	s_or_b32 s44, s44, exec_lo
	s_and_saveexec_b32 s47, s46
	s_cbranch_execz .LBB8_957
	s_branch .LBB8_961
.LBB8_960:                              ;   in Loop: Header=BB8_958 Depth=2
	s_trap 2
	ds_load_b64 v[10:11], v0
	s_and_not1_b32 s46, s46, exec_lo
	s_mov_b32 s45, 0
	s_wait_storecnt 0x0
	s_wait_loadcnt_dscnt 0x0
	flat_load_b32 v10, v[10:11] scope:SCOPE_SYS
	s_wait_loadcnt_dscnt 0x0
	global_inv scope:SCOPE_SYS
	v_cmp_eq_u32_e32 vcc_lo, 0, v10
	s_and_b32 s47, vcc_lo, exec_lo
	s_delay_alu instid0(SALU_CYCLE_1)
	s_or_b32 s46, s46, s47
	s_mov_b32 s56, -1
	s_or_b32 s44, s44, exec_lo
	s_and_saveexec_b32 s47, s46
	s_cbranch_execz .LBB8_957
.LBB8_961:                              ;   in Loop: Header=BB8_958 Depth=2
	s_sleep 1
	s_trap 2
	ds_load_b64 v[10:11], v0
	s_wait_dscnt 0x0
	s_and_not1_b32 s44, s44, exec_lo
	v_cmp_ge_u64_e32 vcc_lo, v[10:11], v[26:27]
	s_or_not1_b32 s56, vcc_lo, exec_lo
	s_branch .LBB8_957
.LBB8_962:                              ;   in Loop: Header=BB8_77 Depth=1
	s_or_b32 exec_lo, exec_lo, s42
	s_and_saveexec_b32 s42, s43
	s_delay_alu instid0(SALU_CYCLE_1)
	s_xor_b32 s42, exec_lo, s42
	s_cbranch_execz .LBB8_964
; %bb.963:                              ;   in Loop: Header=BB8_77 Depth=1
	ds_store_b32 v0, v116
	s_trap 2
.LBB8_964:                              ;   in Loop: Header=BB8_77 Depth=1
	s_or_b32 exec_lo, exec_lo, s21
	;;#ASMSTART
	s_wakeup
	;;#ASMEND
.LBB8_965:                              ;   in Loop: Header=BB8_77 Depth=1
	s_or_b32 exec_lo, exec_lo, s20
.LBB8_966:                              ;   in Loop: Header=BB8_77 Depth=1
	s_and_not1_saveexec_b32 s19, s19
	s_cbranch_execz .LBB8_968
; %bb.967:                              ;   in Loop: Header=BB8_77 Depth=1
	;;#ASMSTART
	s_waitcnt lgkmcnt(0) vmcnt(0)
	;;#ASMEND
	s_barrier_signal -1
	s_barrier_wait -1
.LBB8_968:                              ;   in Loop: Header=BB8_77 Depth=1
	s_or_b32 exec_lo, exec_lo, s19
	v_and_b32_e32 v11, 16, v114
                                        ; implicit-def: $vgpr10
	s_and_not1_saveexec_b32 s19, s14
	s_cbranch_execz .LBB8_980
	s_branch .LBB8_977
.LBB8_969:                              ;   in Loop: Header=BB8_77 Depth=1
	s_or_b32 exec_lo, exec_lo, s42
	s_and_saveexec_b32 s42, s43
	s_delay_alu instid0(SALU_CYCLE_1)
	s_xor_b32 s42, exec_lo, s42
	s_cbranch_execz .LBB8_971
; %bb.970:                              ;   in Loop: Header=BB8_77 Depth=1
	ds_store_b32 v0, v116
	s_trap 2
.LBB8_971:                              ;   in Loop: Header=BB8_77 Depth=1
	s_or_b32 exec_lo, exec_lo, s21
	;;#ASMSTART
	s_wakeup
	;;#ASMEND
.LBB8_972:                              ;   in Loop: Header=BB8_77 Depth=1
	s_or_b32 exec_lo, exec_lo, s20
.LBB8_973:                              ;   in Loop: Header=BB8_77 Depth=1
	s_and_not1_saveexec_b32 s19, s19
	s_cbranch_execz .LBB8_975
; %bb.974:                              ;   in Loop: Header=BB8_77 Depth=1
	global_wb scope:SCOPE_DEV
	s_wait_storecnt 0x0
	s_wait_loadcnt_dscnt 0x0
	global_inv scope:SCOPE_DEV
	s_barrier_signal -1
	s_barrier_wait -1
.LBB8_975:                              ;   in Loop: Header=BB8_77 Depth=1
	s_or_b32 exec_lo, exec_lo, s19
	s_delay_alu instid0(SALU_CYCLE_1) | instskip(SKIP_1) | instid1(SALU_CYCLE_1)
	s_or_b32 exec_lo, exec_lo, s14
                                        ; implicit-def: $vgpr11
	s_and_saveexec_b32 s14, s28
	s_xor_b32 s14, exec_lo, s14
	s_cbranch_execnz .LBB8_909
.LBB8_976:                              ;   in Loop: Header=BB8_77 Depth=1
	s_and_not1_saveexec_b32 s19, s14
	s_cbranch_execz .LBB8_980
.LBB8_977:                              ;   in Loop: Header=BB8_77 Depth=1
	s_trap 2
	ds_load_b32 v11, v0
	v_cmp_lt_i32_e32 vcc_lo, 0, v10
	s_wait_dscnt 0x0
	v_readfirstlane_b32 s14, v11
	v_and_b32_e32 v11, 16, v114
	s_cmp_eq_u32 s14, 0
	s_delay_alu instid0(VALU_DEP_1) | instskip(SKIP_3) | instid1(SALU_CYCLE_1)
	v_cmp_ne_u32_e64 s14, 0, v11
	s_cselect_b32 s20, -1, 0
	v_and_b32_e32 v11, 16, v114
	s_and_b32 s20, vcc_lo, s20
	s_and_b32 s20, s14, s20
	s_delay_alu instid0(SALU_CYCLE_1)
	s_and_saveexec_b32 s14, s20
	s_cbranch_execz .LBB8_979
; %bb.978:                              ;   in Loop: Header=BB8_77 Depth=1
	v_mov_b32_e32 v11, 1
	global_wb scope:SCOPE_SYS
	s_wait_loadcnt 0x0
	s_wait_storecnt 0x0
	global_inv scope:SCOPE_SYS
.LBB8_979:                              ;   in Loop: Header=BB8_77 Depth=1
	s_or_b32 exec_lo, exec_lo, s14
.LBB8_980:                              ;   in Loop: Header=BB8_77 Depth=1
	s_delay_alu instid0(SALU_CYCLE_1)
	s_or_b32 exec_lo, exec_lo, s19
	s_mov_b32 s14, s17
	s_mov_b32 s20, s16
	s_mov_b32 s19, exec_lo
	v_cmpx_ne_u32_e32 0, v11
; %bb.981:                              ;   in Loop: Header=BB8_77 Depth=1
	s_and_not1_b32 s14, s16, exec_lo
	s_and_b32 s20, s5, exec_lo
	s_and_not1_b32 s21, s17, exec_lo
	s_and_b32 s42, s6, exec_lo
	s_or_b32 s20, s14, s20
	s_or_b32 s14, s21, s42
; %bb.982:                              ;   in Loop: Header=BB8_77 Depth=1
	s_or_b32 exec_lo, exec_lo, s19
	s_delay_alu instid0(SALU_CYCLE_1)
	s_and_not1_b32 s19, s16, exec_lo
	s_and_b32 s20, s20, exec_lo
	s_and_not1_b32 s21, s17, exec_lo
	s_and_b32 s14, s14, exec_lo
	s_or_b32 s20, s19, s20
	s_or_b32 s19, s21, s14
.LBB8_983:                              ;   in Loop: Header=BB8_77 Depth=1
	s_or_b32 exec_lo, exec_lo, s15
	s_delay_alu instid0(SALU_CYCLE_1)
	s_and_not1_b32 s14, s16, exec_lo
	s_and_b32 s15, s20, exec_lo
	s_and_not1_b32 s17, s17, exec_lo
	s_and_b32 s19, s19, exec_lo
	s_or_b32 s16, s14, s15
	s_or_b32 s17, s17, s19
.LBB8_984:                              ;   in Loop: Header=BB8_77 Depth=1
	s_or_b32 exec_lo, exec_lo, s18
	s_and_saveexec_b32 s14, s17
	s_cbranch_execz .LBB8_986
; %bb.985:                              ;   in Loop: Header=BB8_77 Depth=1
	s_or_b32 s16, s16, exec_lo
	global_wb scope:SCOPE_SYS
	s_wait_storecnt 0x0
	s_wait_loadcnt_dscnt 0x0
	flat_store_b32 v[28:29], v116 scope:SCOPE_SYS
.LBB8_986:                              ;   in Loop: Header=BB8_77 Depth=1
	s_wait_xcnt 0x0
	s_or_b32 exec_lo, exec_lo, s14
	s_delay_alu instid0(SALU_CYCLE_1) | instskip(SKIP_1) | instid1(SALU_CYCLE_1)
	s_and_not1_b32 s14, s40, exec_lo
	s_and_b32 s15, s16, exec_lo
	s_or_b32 s40, s14, s15
	s_or_b32 exec_lo, exec_lo, s41
	s_and_saveexec_b32 s14, s40
	s_cbranch_execz .LBB8_76
	s_branch .LBB8_998
.LBB8_987:                              ;   in Loop: Header=BB8_77 Depth=1
	s_or_b32 exec_lo, exec_lo, s42
	s_and_saveexec_b32 s42, s43
	s_delay_alu instid0(SALU_CYCLE_1)
	s_xor_b32 s42, exec_lo, s42
	s_cbranch_execz .LBB8_989
; %bb.988:                              ;   in Loop: Header=BB8_77 Depth=1
	ds_store_b32 v0, v116
	s_trap 2
.LBB8_989:                              ;   in Loop: Header=BB8_77 Depth=1
	s_or_b32 exec_lo, exec_lo, s40
	;;#ASMSTART
	s_wakeup
	;;#ASMEND
.LBB8_990:                              ;   in Loop: Header=BB8_77 Depth=1
	s_or_b32 exec_lo, exec_lo, s21
.LBB8_991:                              ;   in Loop: Header=BB8_77 Depth=1
	s_and_not1_saveexec_b32 s20, s20
	s_cbranch_execz .LBB8_993
; %bb.992:                              ;   in Loop: Header=BB8_77 Depth=1
	;;#ASMSTART
	s_waitcnt lgkmcnt(0) vmcnt(0)
	;;#ASMEND
	s_barrier_signal -1
	s_barrier_wait -1
.LBB8_993:                              ;   in Loop: Header=BB8_77 Depth=1
	s_or_b32 exec_lo, exec_lo, s20
.LBB8_994:                              ;   in Loop: Header=BB8_77 Depth=1
	s_delay_alu instid0(SALU_CYCLE_1) | instskip(SKIP_2) | instid1(VALU_DEP_1)
	s_or_b32 exec_lo, exec_lo, s16
	v_and_b32_e32 v10, 32, v114
	s_and_not1_b32 s16, s17, exec_lo
	v_cmp_ne_u32_e32 vcc_lo, 0, v10
	s_and_b32 s20, vcc_lo, exec_lo
	s_delay_alu instid0(SALU_CYCLE_1)
	s_or_b32 s16, s16, s20
.LBB8_995:                              ;   in Loop: Header=BB8_77 Depth=1
	s_or_b32 exec_lo, exec_lo, s19
	s_delay_alu instid0(SALU_CYCLE_1) | instskip(SKIP_1) | instid1(SALU_CYCLE_1)
	s_and_not1_b32 s17, s17, exec_lo
	s_and_b32 s16, s16, exec_lo
	s_or_b32 s17, s17, s16
.LBB8_996:                              ;   in Loop: Header=BB8_77 Depth=1
	s_or_b32 exec_lo, exec_lo, s18
	s_delay_alu instid0(SALU_CYCLE_1)
	s_and_b32 s40, s17, exec_lo
                                        ; implicit-def: $vgpr84
                                        ; implicit-def: $vgpr40
                                        ; implicit-def: $vgpr10_vgpr11
	s_and_not1_saveexec_b32 s41, s41
	s_cbranch_execnz .LBB8_86
.LBB8_997:                              ;   in Loop: Header=BB8_77 Depth=1
	s_or_b32 exec_lo, exec_lo, s41
	s_and_saveexec_b32 s14, s40
	s_cbranch_execz .LBB8_76
.LBB8_998:                              ;   in Loop: Header=BB8_77 Depth=1
	v_add_nc_u64_e32 v[8:9], 1, v[8:9]
	global_wb scope:SCOPE_SYS
	s_wait_storecnt 0x0
	s_wait_loadcnt_dscnt 0x0
	flat_store_b64 v[20:21], v[8:9] scope:SCOPE_SYS
	s_branch .LBB8_76
.LBB8_999:
	s_or_b32 exec_lo, exec_lo, s25
.LBB8_1000:
	s_delay_alu instid0(SALU_CYCLE_1) | instskip(SKIP_2) | instid1(VALU_DEP_1)
	s_or_b32 exec_lo, exec_lo, s24
	v_and_b32_e32 v0, 0x800, v114
	s_mov_b32 s1, exec_lo
	v_cmpx_eq_u32_e32 0, v0
	s_cbranch_execz .LBB8_1033
; %bb.1001:
	v_and_b32_e32 v0, 48, v114
	s_mov_b32 s0, exec_lo
	s_delay_alu instid0(VALU_DEP_1)
	v_cmpx_ne_u32_e32 0, v0
	s_cbranch_execz .LBB8_1003
; %bb.1002:
	s_wait_dscnt 0x0
	flat_store_b64 v[18:19], v[8:9] offset:104
.LBB8_1003:
	s_wait_xcnt 0x0
	s_or_b32 exec_lo, exec_lo, s0
	v_and_b32_e32 v0, 0x88, v114
	s_mov_b32 s2, exec_lo
	s_delay_alu instid0(VALU_DEP_1)
	v_cmpx_eq_u32_e32 0x88, v0
	s_cbranch_execz .LBB8_1013
; %bb.1004:
	s_wait_dscnt 0x0
	v_dual_add_nc_u32 v0, -1, v8 :: v_dual_bitop2_b32 v4, 64, v114 bitop3:0x40
	s_mov_b32 s3, 0
	s_delay_alu instid0(VALU_DEP_1) | instskip(NEXT) | instid1(VALU_DEP_2)
	v_and_b32_e32 v0, 7, v0
	v_cmp_eq_u32_e64 s0, 0, v4
	s_delay_alu instid0(VALU_DEP_2)
	v_mad_nc_u64_u32 v[0:1], v0, 24, v[6:7]
	flat_load_b64 v[2:3], v[0:1] offset:8 scope:SCOPE_SYS
	s_wait_loadcnt_dscnt 0x0
	v_cmp_ne_u64_e32 vcc_lo, -1, v[2:3]
	s_and_b32 s0, vcc_lo, s0
	s_wait_xcnt 0x0
	s_and_b32 exec_lo, exec_lo, s0
	s_cbranch_execz .LBB8_1013
; %bb.1005:
	s_mov_b32 s5, 0
                                        ; implicit-def: $sgpr0
                                        ; implicit-def: $sgpr4
	s_branch .LBB8_1008
.LBB8_1006:                             ;   in Loop: Header=BB8_1008 Depth=1
	flat_load_b64 v[4:5], v[0:1] offset:8 scope:SCOPE_SYS
	s_wait_loadcnt 0x0
	s_and_not1_b32 s4, s4, exec_lo
	s_wait_dscnt 0x0
	v_cmp_eq_u64_e32 vcc_lo, -1, v[4:5]
	s_or_not1_b32 s7, vcc_lo, exec_lo
.LBB8_1007:                             ;   in Loop: Header=BB8_1008 Depth=1
	s_wait_xcnt 0x0
	s_or_b32 exec_lo, exec_lo, s10
	s_delay_alu instid0(SALU_CYCLE_1) | instskip(NEXT) | instid1(SALU_CYCLE_1)
	s_and_b32 s6, exec_lo, s7
	s_or_b32 s3, s6, s3
	s_and_not1_b32 s0, s0, exec_lo
	s_and_b32 s6, s4, exec_lo
	s_delay_alu instid0(SALU_CYCLE_1)
	s_or_b32 s0, s0, s6
	s_and_not1_b32 exec_lo, exec_lo, s3
	s_cbranch_execz .LBB8_1011
.LBB8_1008:                             ; =>This Inner Loop Header: Depth=1
	s_cmp_lt_i32 s5, 0x270f
	s_cselect_b32 s6, -1, 0
	s_delay_alu instid0(SALU_CYCLE_1)
	s_and_b32 vcc_lo, exec_lo, s6
	s_cbranch_vccnz .LBB8_1010
; %bb.1009:                             ;   in Loop: Header=BB8_1008 Depth=1
	s_trap 2
	ds_load_b64 v[2:3], v0
	s_and_not1_b32 s6, s6, exec_lo
	s_mov_b32 s5, 0
	s_wait_storecnt_dscnt 0x0
	flat_load_b32 v2, v[2:3] scope:SCOPE_SYS
	s_wait_loadcnt_dscnt 0x0
	global_inv scope:SCOPE_SYS
	v_cmp_eq_u32_e32 vcc_lo, 0, v2
	s_and_b32 s7, vcc_lo, exec_lo
	s_delay_alu instid0(SALU_CYCLE_1)
	s_or_b32 s6, s6, s7
	s_mov_b32 s7, -1
	s_or_b32 s4, s4, exec_lo
	s_wait_xcnt 0x0
	s_and_saveexec_b32 s10, s6
	s_cbranch_execz .LBB8_1007
	s_branch .LBB8_1006
.LBB8_1010:                             ;   in Loop: Header=BB8_1008 Depth=1
	s_add_co_i32 s5, s5, 1
                                        ; implicit-def: $vgpr2
	s_mov_b32 s7, -1
	s_or_b32 s4, s4, exec_lo
	s_and_saveexec_b32 s10, s6
	s_cbranch_execz .LBB8_1007
	s_branch .LBB8_1006
.LBB8_1011:
	s_or_b32 exec_lo, exec_lo, s3
	s_and_saveexec_b32 s3, s0
	s_delay_alu instid0(SALU_CYCLE_1)
	s_xor_b32 s3, exec_lo, s3
	s_cbranch_execz .LBB8_1013
; %bb.1012:
	s_wait_loadcnt 0x0
	s_wait_storecnt 0x0
	ds_store_b32 v0, v2
	s_trap 2
.LBB8_1013:
	s_or_b32 exec_lo, exec_lo, s2
	v_and_b32_e32 v0, 0x2000, v114
	s_mov_b32 s0, exec_lo
	s_delay_alu instid0(VALU_DEP_1)
	v_cmpx_ne_u32_e32 0, v0
	s_cbranch_execz .LBB8_1015
; %bb.1014:
	ds_load_b64 v[0:1], v0 offset:872
	s_wait_dscnt 0x0
	flat_store_b64 v[16:17], v[0:1] offset:16
.LBB8_1015:
	s_wait_xcnt 0x0
	s_or_b32 exec_lo, exec_lo, s0
	v_cmp_ne_u32_e32 vcc_lo, 32, v30
	s_and_b32 exec_lo, exec_lo, vcc_lo
	s_cbranch_execz .LBB8_1033
; %bb.1016:
	s_mov_b32 s0, exec_lo
	v_cmpx_ne_u32_e64 v30, v115
	s_xor_b32 s0, exec_lo, s0
	s_cbranch_execz .LBB8_1031
; %bb.1017:
	v_and_b32_e32 v0, 31, v31
	s_mov_b32 s2, exec_lo
	s_delay_alu instid0(VALU_DEP_1)
	v_cmpx_eq_u32_e32 0, v0
	s_cbranch_execz .LBB8_1030
; %bb.1018:
	s_mov_b32 s4, exec_lo
	s_mov_b32 s3, exec_lo
	v_mbcnt_lo_u32_b32 v0, s4, 0
	global_wb scope:SCOPE_DEV
	s_wait_storecnt 0x0
	s_wait_loadcnt_dscnt 0x0
	global_inv scope:SCOPE_DEV
	v_cmpx_eq_u32_e32 0, v0
	s_cbranch_execz .LBB8_1020
; %bb.1019:
	s_bcnt1_i32_b32 s4, s4
	s_delay_alu instid0(SALU_CYCLE_1)
	v_dual_mov_b32 v1, 0 :: v_dual_mov_b32 v0, s4
	s_wait_loadcnt 0x0
	ds_add_u64 v0, v[0:1]
	s_trap 2
.LBB8_1020:
	s_or_b32 exec_lo, exec_lo, s3
	s_trap 2
	ds_load_b64 v[2:3], v0
	s_wait_dscnt 0x0
	v_dual_mov_b32 v1, 0 :: v_dual_lshrrev_b32 v0, 5, v30
	s_mov_b32 s3, exec_lo
	s_delay_alu instid0(VALU_DEP_1) | instskip(NEXT) | instid1(VALU_DEP_1)
	v_add_nc_u64_e32 v[0:1], v[26:27], v[0:1]
	v_cmpx_lt_u64_e64 v[2:3], v[0:1]
	s_cbranch_execz .LBB8_1029
; %bb.1021:
	s_mov_b32 s4, 0
	s_mov_b32 s7, 0
                                        ; implicit-def: $sgpr5
                                        ; implicit-def: $sgpr6
	s_branch .LBB8_1023
.LBB8_1022:                             ;   in Loop: Header=BB8_1023 Depth=1
	s_or_b32 exec_lo, exec_lo, s11
	s_delay_alu instid0(SALU_CYCLE_1) | instskip(NEXT) | instid1(SALU_CYCLE_1)
	s_and_b32 s10, exec_lo, s12
	s_or_b32 s4, s10, s4
	s_and_not1_b32 s5, s5, exec_lo
	s_and_b32 s10, s6, exec_lo
	s_delay_alu instid0(SALU_CYCLE_1)
	s_or_b32 s5, s5, s10
	s_and_not1_b32 exec_lo, exec_lo, s4
	s_cbranch_execz .LBB8_1027
.LBB8_1023:                             ; =>This Inner Loop Header: Depth=1
	s_add_co_i32 s7, s7, 1
	s_delay_alu instid0(SALU_CYCLE_1) | instskip(SKIP_1) | instid1(SALU_CYCLE_1)
	s_cmp_lg_u32 s7, 0x2710
	s_cselect_b32 s10, -1, 0
	s_and_b32 vcc_lo, exec_lo, s10
	s_cbranch_vccz .LBB8_1025
; %bb.1024:                             ;   in Loop: Header=BB8_1023 Depth=1
	s_mov_b32 s12, -1
	s_or_b32 s6, s6, exec_lo
	s_and_saveexec_b32 s11, s10
	s_cbranch_execz .LBB8_1022
	s_branch .LBB8_1026
.LBB8_1025:                             ;   in Loop: Header=BB8_1023 Depth=1
	s_trap 2
	ds_load_b64 v[2:3], v0
	s_and_not1_b32 s10, s10, exec_lo
	s_mov_b32 s7, 0
	s_wait_loadcnt_dscnt 0x0
	flat_load_b32 v2, v[2:3] scope:SCOPE_SYS
	s_wait_loadcnt_dscnt 0x0
	global_inv scope:SCOPE_SYS
	v_cmp_eq_u32_e32 vcc_lo, 0, v2
	s_and_b32 s11, vcc_lo, exec_lo
	s_delay_alu instid0(SALU_CYCLE_1)
	s_or_b32 s10, s10, s11
	s_mov_b32 s12, -1
	s_or_b32 s6, s6, exec_lo
	s_and_saveexec_b32 s11, s10
	s_cbranch_execz .LBB8_1022
.LBB8_1026:                             ;   in Loop: Header=BB8_1023 Depth=1
	s_sleep 1
	s_trap 2
	ds_load_b64 v[2:3], v0
	s_wait_dscnt 0x0
	s_and_not1_b32 s6, s6, exec_lo
	v_cmp_ge_u64_e32 vcc_lo, v[2:3], v[0:1]
	s_or_not1_b32 s12, vcc_lo, exec_lo
	s_branch .LBB8_1022
.LBB8_1027:
	s_or_b32 exec_lo, exec_lo, s4
	s_and_saveexec_b32 s4, s5
	s_delay_alu instid0(SALU_CYCLE_1)
	s_xor_b32 s4, exec_lo, s4
	s_cbranch_execz .LBB8_1029
; %bb.1028:
	v_mov_b32_e32 v0, 1
	ds_store_b32 v0, v0
	s_trap 2
.LBB8_1029:
	s_or_b32 exec_lo, exec_lo, s3
	;;#ASMSTART
	s_wakeup
	;;#ASMEND
.LBB8_1030:
	s_or_b32 exec_lo, exec_lo, s2
.LBB8_1031:
	s_and_not1_saveexec_b32 s0, s0
	s_cbranch_execz .LBB8_1033
; %bb.1032:
	global_wb scope:SCOPE_DEV
	s_wait_storecnt 0x0
	s_wait_loadcnt_dscnt 0x0
	global_inv scope:SCOPE_DEV
	s_barrier_signal -1
	s_barrier_wait -1
.LBB8_1033:
	s_or_b32 exec_lo, exec_lo, s1
.LBB8_1034:
	s_and_not1_saveexec_b32 s21, s23
	s_cbranch_execz .LBB8_1036
; %bb.1035:
	s_get_pc_i64 s[0:1]
	s_add_nc_u64 s[0:1], s[0:1], __PRETTY_FUNCTION__._ZN10PrimitivesIa7FuncSumIaE12FanSymmetricILi1EELi0E11ProtoSimpleILi1ELi1ELi0ELi2ELi0ELi0EELi0ELb0ELi0ELi0ELi0EEC2EiiPKiS8_PKvPvmhhhP15ncclDevWorkCollP14ncclDevWorkP2pii@rel64+4
	s_get_pc_i64 s[2:3]
	s_add_nc_u64 s[2:3], s[2:3], __assert_fail@rel64+4
	v_dual_mov_b32 v0, s0 :: v_dual_mov_b32 v1, s1
	s_swap_pc_i64 s[30:31], s[2:3]
	; divergent unreachable
.LBB8_1036:
	s_or_b32 exec_lo, exec_lo, s21
.LBB8_1037:
	s_delay_alu instid0(SALU_CYCLE_1)
	s_or_b32 exec_lo, exec_lo, s22
	s_clause 0xf
	scratch_load_b32 v63, off, s33
	scratch_load_b32 v62, off, s33 offset:4
	scratch_load_b32 v61, off, s33 offset:8
	;; [unrolled: 1-line block ×15, first 2 shown]
	v_readlane_b32 s30, v72, 0
	v_readlane_b32 s31, v72, 1
	s_mov_b32 s32, s33
	s_wait_xcnt 0x0
	s_or_saveexec_b32 s0, -1
	scratch_load_b32 v72, off, s33 offset:64 ; 4-byte Folded Reload
	s_wait_xcnt 0x0
	s_mov_b32 exec_lo, s0
	s_mov_b32 s33, s60
	s_wait_loadcnt_dscnt 0x0
	s_set_pc_i64 s[30:31]
.Lfunc_end8:
	.size	_ZN12_GLOBAL__N_17runRingIa7FuncSumIaE11ProtoSimpleILi1ELi1ELi0ELi2ELi0ELi0EELi0ELi2ELi0EEEviiP15ncclDevWorkColl, .Lfunc_end8-_ZN12_GLOBAL__N_17runRingIa7FuncSumIaE11ProtoSimpleILi1ELi1ELi0ELi2ELi0ELi0EELi0ELi2ELi0EEEviiP15ncclDevWorkColl
                                        ; -- End function
	.set .L_ZN12_GLOBAL__N_17runRingIa7FuncSumIaE11ProtoSimpleILi1ELi1ELi0ELi2ELi0ELi0EELi0ELi2ELi0EEEviiP15ncclDevWorkColl.num_vgpr, max(120, .L__assert_fail.num_vgpr)
	.set .L_ZN12_GLOBAL__N_17runRingIa7FuncSumIaE11ProtoSimpleILi1ELi1ELi0ELi2ELi0ELi0EELi0ELi2ELi0EEEviiP15ncclDevWorkColl.num_agpr, max(0, .L__assert_fail.num_agpr)
	.set .L_ZN12_GLOBAL__N_17runRingIa7FuncSumIaE11ProtoSimpleILi1ELi1ELi0ELi2ELi0ELi0EELi0ELi2ELi0EEEviiP15ncclDevWorkColl.numbered_sgpr, max(61, .L__assert_fail.numbered_sgpr)
	.set .L_ZN12_GLOBAL__N_17runRingIa7FuncSumIaE11ProtoSimpleILi1ELi1ELi0ELi2ELi0ELi0EELi0ELi2ELi0EEEviiP15ncclDevWorkColl.num_named_barrier, max(0, .L__assert_fail.num_named_barrier)
	.set .L_ZN12_GLOBAL__N_17runRingIa7FuncSumIaE11ProtoSimpleILi1ELi1ELi0ELi2ELi0ELi0EELi0ELi2ELi0EEEviiP15ncclDevWorkColl.private_seg_size, 80+max(.L__assert_fail.private_seg_size)
	.set .L_ZN12_GLOBAL__N_17runRingIa7FuncSumIaE11ProtoSimpleILi1ELi1ELi0ELi2ELi0ELi0EELi0ELi2ELi0EEEviiP15ncclDevWorkColl.uses_vcc, or(1, .L__assert_fail.uses_vcc)
	.set .L_ZN12_GLOBAL__N_17runRingIa7FuncSumIaE11ProtoSimpleILi1ELi1ELi0ELi2ELi0ELi0EELi0ELi2ELi0EEEviiP15ncclDevWorkColl.uses_flat_scratch, or(1, .L__assert_fail.uses_flat_scratch)
	.set .L_ZN12_GLOBAL__N_17runRingIa7FuncSumIaE11ProtoSimpleILi1ELi1ELi0ELi2ELi0ELi0EELi0ELi2ELi0EEEviiP15ncclDevWorkColl.has_dyn_sized_stack, or(0, .L__assert_fail.has_dyn_sized_stack)
	.set .L_ZN12_GLOBAL__N_17runRingIa7FuncSumIaE11ProtoSimpleILi1ELi1ELi0ELi2ELi0ELi0EELi0ELi2ELi0EEEviiP15ncclDevWorkColl.has_recursion, or(1, .L__assert_fail.has_recursion)
	.set .L_ZN12_GLOBAL__N_17runRingIa7FuncSumIaE11ProtoSimpleILi1ELi1ELi0ELi2ELi0ELi0EELi0ELi2ELi0EEEviiP15ncclDevWorkColl.has_indirect_call, or(0, .L__assert_fail.has_indirect_call)
	.section	.AMDGPU.csdata,"",@progbits
; Function info:
; codeLenInByte = 36720
; TotalNumSgprs: 63
; NumVgprs: 120
; ScratchSize: 144
; MemoryBound: 1
	.text
	.p2align	2                               ; -- Begin function _Z46ncclDevFunc_Broadcast_RING_SIMPLE_Sum_i8_0_0_2v
	.type	_Z46ncclDevFunc_Broadcast_RING_SIMPLE_Sum_i8_0_0_2v,@function
_Z46ncclDevFunc_Broadcast_RING_SIMPLE_Sum_i8_0_0_2v: ; @_Z46ncclDevFunc_Broadcast_RING_SIMPLE_Sum_i8_0_0_2v
; %bb.0:
	s_wait_loadcnt_dscnt 0x0
	s_wait_kmcnt 0x0
	s_mov_b32 s76, s33
	s_mov_b32 s33, s32
	s_or_saveexec_b32 s0, -1
	scratch_store_b32 off, v42, s33 offset:12 ; 4-byte Folded Spill
	s_wait_xcnt 0x0
	s_mov_b32 exec_lo, s0
	s_add_co_i32 s32, s32, 32
	s_clause 0x2
	scratch_store_b32 off, v40, s33 offset:8
	; meta instruction
	scratch_store_b32 off, v41, s33 offset:4
	; meta instruction
	scratch_store_b32 off, v72, s33
	v_writelane_b32 v42, s30, 0
	v_writelane_b32 v42, s31, 1
	s_trap 2
	ds_load_b32 v0, v0
	s_wait_xcnt 0x2
	v_mov_b32_e32 v40, v31
	s_wait_dscnt 0x0
	v_cmp_gt_i32_e32 vcc_lo, 1, v0
	s_cbranch_vccnz .LBB9_8
; %bb.1:
	s_wait_xcnt 0x1
	v_and_b32_e32 v41, 0x3ff, v40
	s_mov_b32 s61, s12
	s_mov_b64 s[62:63], s[8:9]
	s_mov_b32 s74, 0
	s_get_pc_i64 s[72:73]
	s_add_nc_u64 s[72:73], s[72:73], _ZN12_GLOBAL__N_17runRingIa7FuncSumIaE11ProtoSimpleILi1ELi1ELi0ELi2ELi0ELi0EELi0ELi2ELi0EEEviiP15ncclDevWorkColl@rel64+4
	s_branch .LBB9_3
.LBB9_2:                                ;   in Loop: Header=BB9_3 Depth=1
	s_or_b32 exec_lo, exec_lo, s75
	s_trap 2
	ds_load_b32 v0, v0
	s_add_co_i32 s74, s74, 1
	s_wait_dscnt 0x0
	v_cmp_lt_i32_e32 vcc_lo, s74, v0
	s_cbranch_vccz .LBB9_8
.LBB9_3:                                ; =>This Inner Loop Header: Depth=1
	s_trap 2
	ds_load_b32 v0, v0
	s_cmp_eq_u32 s74, 0
	s_cbranch_scc1 .LBB9_6
; %bb.4:                                ;   in Loop: Header=BB9_3 Depth=1
	s_trap 2
	s_wait_dscnt 0x0
	ds_load_b32 v1, v0
	s_wait_dscnt 0x0
	v_xor_b32_e32 v1, v1, v0
	s_delay_alu instid0(VALU_DEP_1) | instskip(NEXT) | instid1(VALU_DEP_1)
	v_and_b32_e32 v1, 0xff0000, v1
	v_cmp_eq_u32_e32 vcc_lo, 0, v1
	s_cbranch_vccnz .LBB9_6
; %bb.5:                                ;   in Loop: Header=BB9_3 Depth=1
	s_wait_storecnt 0x0
	s_barrier_signal -1
	s_barrier_wait -1
	ds_load_b32 v0, v0
.LBB9_6:                                ;   in Loop: Header=BB9_3 Depth=1
	s_wait_dscnt 0x0
	v_lshrrev_b32_e32 v0, 11, v0
	s_mov_b32 s75, exec_lo
	s_delay_alu instid0(VALU_DEP_1) | instskip(SKIP_1) | instid1(VALU_DEP_1)
	v_and_b32_e32 v1, 0x1fe0, v0
	s_wait_xcnt 0x0
	v_cmpx_lt_u32_e64 v41, v1
	s_cbranch_execz .LBB9_2
; %bb.7:                                ;   in Loop: Header=BB9_3 Depth=1
	s_mov_b64 s[0:1], src_shared_base
	v_dual_mov_b32 v31, v40 :: v_dual_mov_b32 v0, v41
	v_mov_b32_e32 v3, s1
	s_mov_b64 s[8:9], s[62:63]
	s_mov_b32 s12, s61
	s_swap_pc_i64 s[30:31], s[72:73]
	s_branch .LBB9_2
.LBB9_8:
	s_clause 0x2
	scratch_load_b32 v72, off, s33
	scratch_load_b32 v41, off, s33 offset:4
	scratch_load_b32 v40, off, s33 offset:8
	v_readlane_b32 s30, v42, 0
	v_readlane_b32 s31, v42, 1
	s_mov_b32 s32, s33
	s_wait_xcnt 0x0
	s_or_saveexec_b32 s0, -1
	scratch_load_b32 v42, off, s33 offset:12 ; 4-byte Folded Reload
	s_wait_xcnt 0x0
	s_mov_b32 exec_lo, s0
	s_mov_b32 s33, s76
	s_wait_loadcnt 0x0
	s_set_pc_i64 s[30:31]
.Lfunc_end9:
	.size	_Z46ncclDevFunc_Broadcast_RING_SIMPLE_Sum_i8_0_0_2v, .Lfunc_end9-_Z46ncclDevFunc_Broadcast_RING_SIMPLE_Sum_i8_0_0_2v
                                        ; -- End function
	.set .L_Z46ncclDevFunc_Broadcast_RING_SIMPLE_Sum_i8_0_0_2v.num_vgpr, max(73, .L_ZN12_GLOBAL__N_17runRingIa7FuncSumIaE11ProtoSimpleILi1ELi1ELi0ELi2ELi0ELi0EELi0ELi2ELi0EEEviiP15ncclDevWorkColl.num_vgpr)
	.set .L_Z46ncclDevFunc_Broadcast_RING_SIMPLE_Sum_i8_0_0_2v.num_agpr, max(0, .L_ZN12_GLOBAL__N_17runRingIa7FuncSumIaE11ProtoSimpleILi1ELi1ELi0ELi2ELi0ELi0EELi0ELi2ELi0EEEviiP15ncclDevWorkColl.num_agpr)
	.set .L_Z46ncclDevFunc_Broadcast_RING_SIMPLE_Sum_i8_0_0_2v.numbered_sgpr, max(77, .L_ZN12_GLOBAL__N_17runRingIa7FuncSumIaE11ProtoSimpleILi1ELi1ELi0ELi2ELi0ELi0EELi0ELi2ELi0EEEviiP15ncclDevWorkColl.numbered_sgpr)
	.set .L_Z46ncclDevFunc_Broadcast_RING_SIMPLE_Sum_i8_0_0_2v.num_named_barrier, max(0, .L_ZN12_GLOBAL__N_17runRingIa7FuncSumIaE11ProtoSimpleILi1ELi1ELi0ELi2ELi0ELi0EELi0ELi2ELi0EEEviiP15ncclDevWorkColl.num_named_barrier)
	.set .L_Z46ncclDevFunc_Broadcast_RING_SIMPLE_Sum_i8_0_0_2v.private_seg_size, 32+max(.L_ZN12_GLOBAL__N_17runRingIa7FuncSumIaE11ProtoSimpleILi1ELi1ELi0ELi2ELi0ELi0EELi0ELi2ELi0EEEviiP15ncclDevWorkColl.private_seg_size)
	.set .L_Z46ncclDevFunc_Broadcast_RING_SIMPLE_Sum_i8_0_0_2v.uses_vcc, or(1, .L_ZN12_GLOBAL__N_17runRingIa7FuncSumIaE11ProtoSimpleILi1ELi1ELi0ELi2ELi0ELi0EELi0ELi2ELi0EEEviiP15ncclDevWorkColl.uses_vcc)
	.set .L_Z46ncclDevFunc_Broadcast_RING_SIMPLE_Sum_i8_0_0_2v.uses_flat_scratch, or(1, .L_ZN12_GLOBAL__N_17runRingIa7FuncSumIaE11ProtoSimpleILi1ELi1ELi0ELi2ELi0ELi0EELi0ELi2ELi0EEEviiP15ncclDevWorkColl.uses_flat_scratch)
	.set .L_Z46ncclDevFunc_Broadcast_RING_SIMPLE_Sum_i8_0_0_2v.has_dyn_sized_stack, or(0, .L_ZN12_GLOBAL__N_17runRingIa7FuncSumIaE11ProtoSimpleILi1ELi1ELi0ELi2ELi0ELi0EELi0ELi2ELi0EEEviiP15ncclDevWorkColl.has_dyn_sized_stack)
	.set .L_Z46ncclDevFunc_Broadcast_RING_SIMPLE_Sum_i8_0_0_2v.has_recursion, or(1, .L_ZN12_GLOBAL__N_17runRingIa7FuncSumIaE11ProtoSimpleILi1ELi1ELi0ELi2ELi0ELi0EELi0ELi2ELi0EEEviiP15ncclDevWorkColl.has_recursion)
	.set .L_Z46ncclDevFunc_Broadcast_RING_SIMPLE_Sum_i8_0_0_2v.has_indirect_call, or(0, .L_ZN12_GLOBAL__N_17runRingIa7FuncSumIaE11ProtoSimpleILi1ELi1ELi0ELi2ELi0ELi0EELi0ELi2ELi0EEEviiP15ncclDevWorkColl.has_indirect_call)
	.section	.AMDGPU.csdata,"",@progbits
; Function info:
; codeLenInByte = 464
; TotalNumSgprs: 79
; NumVgprs: 120
; ScratchSize: 176
; MemoryBound: 0
	.text
	.p2align	2                               ; -- Begin function _ZN12_GLOBAL__N_17runRingIa7FuncSumIaE7ProtoLLLi0ELi4ELi0EEEviiP15ncclDevWorkColl
	.type	_ZN12_GLOBAL__N_17runRingIa7FuncSumIaE7ProtoLLLi0ELi4ELi0EEEviiP15ncclDevWorkColl,@function
_ZN12_GLOBAL__N_17runRingIa7FuncSumIaE7ProtoLLLi0ELi4ELi0EEEviiP15ncclDevWorkColl: ; @_ZN12_GLOBAL__N_17runRingIa7FuncSumIaE7ProtoLLLi0ELi4ELi0EEEviiP15ncclDevWorkColl
; %bb.0:
	s_wait_loadcnt_dscnt 0x0
	s_wait_kmcnt 0x0
	s_trap 2
	ds_load_b64 v[4:5], v0
	s_clause 0x1
	flat_load_b64 v[16:17], v[2:3]
	flat_load_u16 v9, v[2:3] offset:8
	ds_load_b32 v6, v0
	s_mov_b32 s0, exec_lo
                                        ; implicit-def: $vgpr48_vgpr49
                                        ; implicit-def: $vgpr14_vgpr15
	s_wait_dscnt 0x3
	flat_load_b64 v[50:51], v[4:5]
                                        ; implicit-def: $vgpr4_vgpr5
	s_wait_loadcnt_dscnt 0x203
	v_and_b32_e32 v7, 0xff, v16
	v_mov_b32_e32 v8, v17
	s_wait_dscnt 0x1
	s_wait_xcnt 0x0
	s_delay_alu instid0(VALU_DEP_2)
	v_cmpx_ne_u32_e64 v6, v7
	s_xor_b32 s0, exec_lo, s0
	s_cbranch_execz .LBB10_6
; %bb.1:
	v_bfe_u32 v11, v16, 8, 8
	v_not_b32_e32 v10, v7
	s_mov_b32 s1, exec_lo
                                        ; implicit-def: $vgpr48_vgpr49
                                        ; implicit-def: $vgpr4_vgpr5
                                        ; implicit-def: $vgpr14_vgpr15
	s_delay_alu instid0(VALU_DEP_2)
	v_cmpx_ne_u32_e64 v6, v11
	s_xor_b32 s1, exec_lo, s1
	s_cbranch_execz .LBB10_3
; %bb.2:
	s_clause 0x1
	flat_load_b128 v[18:21], v[2:3] offset:72
	flat_load_b64 v[4:5], v[2:3] offset:96
	v_add_nc_u32_e32 v6, v6, v10
                                        ; implicit-def: $vgpr11
                                        ; implicit-def: $vgpr10
	s_wait_loadcnt_dscnt 0x101
	s_delay_alu instid0(VALU_DEP_1) | instskip(SKIP_3) | instid1(VALU_DEP_3)
	v_mad_nc_u64_u32 v[14:15], v20, v6, v[18:19]
	s_wait_loadcnt_dscnt 0x0
	v_lshrrev_b64 v[48:49], 21, v[4:5]
	v_mov_b64_e32 v[4:5], v[20:21]
	v_mad_u32 v7, v21, v6, v15
	v_ashrrev_i32_e32 v6, 31, v6
	s_delay_alu instid0(VALU_DEP_1)
	v_mad_u32 v15, v20, v6, v7
.LBB10_3:
	s_wait_xcnt 0x0
	s_and_not1_saveexec_b32 s1, s1
	s_cbranch_execz .LBB10_5
; %bb.4:
	s_clause 0x1
	flat_load_b128 v[18:21], v[2:3] offset:72
	flat_load_b128 v[4:7], v[2:3] offset:88
	s_wait_loadcnt_dscnt 0x0
	v_dual_add_nc_u32 v6, v11, v10 :: v_dual_lshrrev_b32 v48, 10, v7
	s_delay_alu instid0(VALU_DEP_1) | instskip(NEXT) | instid1(VALU_DEP_1)
	v_mad_nc_u64_u32 v[14:15], v20, v6, v[18:19]
	v_mad_u32 v10, v21, v6, v15
	v_ashrrev_i32_e32 v6, 31, v6
	s_delay_alu instid0(VALU_DEP_1)
	v_mad_u32 v15, v20, v6, v10
.LBB10_5:
	s_wait_xcnt 0x0
	s_or_b32 exec_lo, exec_lo, s1
.LBB10_6:
	s_and_not1_saveexec_b32 s0, s0
	s_cbranch_execz .LBB10_8
; %bb.7:
	s_clause 0x1
	flat_load_b64 v[4:5], v[2:3] offset:72
	flat_load_b64 v[48:49], v[2:3] offset:96
	v_mov_b64_e32 v[14:15], 0
.LBB10_8:
	s_wait_xcnt 0x0
	s_or_b32 exec_lo, exec_lo, s0
	flat_load_b128 v[10:13], v[2:3] offset:16
	s_wait_xcnt 0x0
	v_and_b32_e32 v2, 0x44000000, v16
	v_bfe_u32 v3, v8, 1, 30
	s_mov_b32 s0, exec_lo
	s_delay_alu instid0(VALU_DEP_2) | instskip(NEXT) | instid1(VALU_DEP_1)
	v_cmp_eq_u32_e64 s10, 0x44000000, v2
	v_cndmask_b32_e64 v2, v1, 32, s10
	s_delay_alu instid0(VALU_DEP_1)
	v_cmpx_ge_i32_e64 v0, v2
	s_xor_b32 s1, exec_lo, s0
	s_cbranch_execnz .LBB10_11
; %bb.9:
	s_and_not1_saveexec_b32 s11, s1
	s_cbranch_execnz .LBB10_40
.LBB10_10:
	s_or_b32 exec_lo, exec_lo, s11
	s_wait_loadcnt_dscnt 0x0
	s_set_pc_i64 s[30:31]
.LBB10_11:
	s_wait_loadcnt_dscnt 0x0
	v_cmp_ne_u64_e32 vcc_lo, v[12:13], v[10:11]
	v_cmp_eq_u32_e64 s0, v50, v3
	s_and_b32 s2, vcc_lo, s0
	s_delay_alu instid0(SALU_CYCLE_1)
	s_and_saveexec_b32 s0, s2
	s_cbranch_execz .LBB10_39
; %bb.12:
	v_sub_nc_u32_e32 v27, v0, v2
	v_add_nc_u64_e32 v[8:9], v[12:13], v[14:15]
	v_add_nc_u64_e32 v[16:17], v[10:11], v[14:15]
	s_mov_b32 s2, 0
	s_mov_b32 s3, exec_lo
	v_ashrrev_i16 v0, 15, v27
	s_delay_alu instid0(VALU_DEP_1) | instskip(NEXT) | instid1(VALU_DEP_1)
	v_lshrrev_b16 v0, 11, v0
	v_add_nc_u16 v0, v27, v0
	s_delay_alu instid0(VALU_DEP_1) | instskip(NEXT) | instid1(VALU_DEP_1)
	v_and_b32_e32 v3, 0xffffffe0, v0
	v_sub_nc_u16 v3, v27, v3
	s_delay_alu instid0(VALU_DEP_1)
	v_cmpx_gt_i16_e32 1, v3
; %bb.13:
	v_bitop3_b32 v6, v8, 15, v16 bitop3:0xc8
	s_delay_alu instid0(VALU_DEP_1)
	v_cmp_ne_u32_e32 vcc_lo, 0, v6
	s_and_b32 s2, vcc_lo, exec_lo
; %bb.14:
	s_or_b32 exec_lo, exec_lo, s3
	v_cndmask_b32_e64 v6, 0, 1, s2
	v_sub_nc_u32_e32 v26, v1, v2
	s_delay_alu instid0(VALU_DEP_2)
	v_cmp_ne_u32_e32 vcc_lo, 0, v6
	s_cbranch_vccz .LBB10_16
; %bb.15:
	v_mov_b64_e32 v[0:1], 0
	s_mov_b32 s3, -1
	s_delay_alu instid0(SALU_CYCLE_1)
	s_and_b32 exec_lo, exec_lo, s3
	s_cbranch_execnz .LBB10_31
	s_branch .LBB10_39
.LBB10_16:
	v_dual_ashrrev_i32 v1, 31, v5 :: v_dual_mov_b32 v7, 0
	v_ashrrev_i16 v2, 5, v0
	v_bfe_i32 v22, v3, 0, 16
	s_mov_b32 s3, 0
	s_mov_b32 s2, exec_lo
	s_delay_alu instid0(VALU_DEP_2) | instskip(NEXT) | instid1(VALU_DEP_1)
	v_bfe_i32 v18, v2, 0, 16
	v_dual_lshrrev_b32 v6, 20, v1 :: v_dual_ashrrev_i32 v19, 31, v18
	s_delay_alu instid0(VALU_DEP_1) | instskip(NEXT) | instid1(VALU_DEP_1)
	v_add_nc_u64_e32 v[0:1], v[4:5], v[6:7]
	v_ashrrev_i64 v[0:1], 12, v[0:1]
	s_delay_alu instid0(VALU_DEP_1) | instskip(NEXT) | instid1(VALU_DEP_1)
	v_sub_nc_u64_e32 v[6:7], v[0:1], v[18:19]
	v_cmpx_lt_i64_e32 0, v[6:7]
	s_cbranch_execz .LBB10_20
; %bb.17:
	v_ashrrev_i16 v2, 15, v26
	s_delay_alu instid0(VALU_DEP_1) | instskip(NEXT) | instid1(VALU_DEP_1)
	v_lshrrev_b16 v2, 11, v2
	v_add_nc_u16 v2, v26, v2
	s_delay_alu instid0(VALU_DEP_1) | instskip(NEXT) | instid1(VALU_DEP_1)
	v_ashrrev_i16 v2, 5, v2
	v_bfe_i32 v2, v2, 0, 16
	s_delay_alu instid0(VALU_DEP_1) | instskip(NEXT) | instid1(VALU_DEP_1)
	v_lshlrev_b32_e32 v20, 12, v2
	v_dual_lshlrev_b32 v3, 4, v22 :: v_dual_ashrrev_i32 v21, 31, v20
	s_delay_alu instid0(VALU_DEP_1) | instskip(SKIP_1) | instid1(VALU_DEP_2)
	v_lshl_add_u32 v18, v18, 12, v3
	v_ashrrev_i32_e32 v3, 31, v2
	v_ashrrev_i32_e32 v19, 31, v18
.LBB10_18:                              ; =>This Inner Loop Header: Depth=1
	s_delay_alu instid0(VALU_DEP_1) | instskip(NEXT) | instid1(VALU_DEP_3)
	v_add_nc_u64_e32 v[24:25], v[18:19], v[8:9]
	v_sub_nc_u64_e32 v[6:7], v[6:7], v[2:3]
	v_add_nc_u64_e32 v[8:9], v[8:9], v[20:21]
	s_clause 0x7
	global_load_b128 v[28:31], v[24:25], off th:TH_LOAD_NT
	global_load_b128 v[32:35], v[24:25], off offset:512 th:TH_LOAD_NT
	global_load_b128 v[36:39], v[24:25], off offset:1024 th:TH_LOAD_NT
	;; [unrolled: 1-line block ×7, first 2 shown]
	v_cmp_gt_i64_e32 vcc_lo, 1, v[6:7]
	s_wait_xcnt 0x0
	v_add_nc_u64_e32 v[24:25], v[18:19], v[16:17]
	v_add_nc_u64_e32 v[16:17], v[16:17], v[20:21]
	s_wait_loadcnt 0x7
	global_store_b128 v[24:25], v[28:31], off th:TH_STORE_NT
	s_wait_loadcnt 0x6
	global_store_b128 v[24:25], v[32:35], off offset:512 th:TH_STORE_NT
	s_wait_loadcnt 0x5
	global_store_b128 v[24:25], v[36:39], off offset:1024 th:TH_STORE_NT
	;; [unrolled: 2-line block ×7, first 2 shown]
	s_or_b32 s3, vcc_lo, s3
	s_wait_xcnt 0x0
	s_and_not1_b32 exec_lo, exec_lo, s3
	s_cbranch_execnz .LBB10_18
; %bb.19:
	s_or_b32 exec_lo, exec_lo, s3
.LBB10_20:
	s_delay_alu instid0(SALU_CYCLE_1) | instskip(SKIP_4) | instid1(VALU_DEP_2)
	s_or_b32 exec_lo, exec_lo, s2
	v_lshlrev_b64_e32 v[8:9], 12, v[0:1]
	v_mov_b64_e32 v[0:1], 0
	s_mov_b32 s3, 0
	s_mov_b32 s2, exec_lo
                                        ; implicit-def: $vgpr2_vgpr3
                                        ; implicit-def: $vgpr27
	v_cmpx_ne_u64_e64 v[4:5], v[8:9]
	s_cbranch_execz .LBB10_30
; %bb.21:
	v_sub_nc_u64_e32 v[16:17], v[4:5], v[8:9]
	s_mov_b32 s3, exec_lo
	s_delay_alu instid0(VALU_DEP_1) | instskip(NEXT) | instid1(VALU_DEP_1)
	v_dual_mov_b32 v21, 0 :: v_dual_ashrrev_i32 v0, 31, v17
	v_lshrrev_b32_e32 v20, 23, v0
	s_delay_alu instid0(VALU_DEP_1) | instskip(NEXT) | instid1(VALU_DEP_1)
	v_add_nc_u64_e32 v[0:1], v[16:17], v[20:21]
	v_ashrrev_i64 v[18:19], 9, v[0:1]
	v_and_b32_e32 v0, 0xfffffe00, v0
	s_delay_alu instid0(VALU_DEP_1) | instskip(SKIP_1) | instid1(VALU_DEP_2)
	v_sub_nc_u64_e32 v[2:3], v[16:17], v[0:1]
	v_add_nc_u64_e32 v[0:1], v[0:1], v[8:9]
	v_cmpx_lt_i64_e32 15, v[2:3]
; %bb.22:
	v_and_b32_e32 v20, 15, v4
	v_add_nc_u64_e32 v[18:19], 1, v[18:19]
	s_delay_alu instid0(VALU_DEP_2) | instskip(NEXT) | instid1(VALU_DEP_1)
	v_sub_nc_u64_e32 v[2:3], v[2:3], v[20:21]
	v_add_nc_u64_e32 v[0:1], v[2:3], v[0:1]
	v_mov_b64_e32 v[2:3], v[20:21]
; %bb.23:
	s_or_b32 exec_lo, exec_lo, s3
	v_lshlrev_b32_e32 v4, 5, v6
	s_mov_b32 s3, exec_lo
	s_delay_alu instid0(VALU_DEP_1) | instskip(NEXT) | instid1(VALU_DEP_1)
	v_sub_nc_u32_e32 v4, v22, v4
	v_ashrrev_i32_e32 v5, 31, v4
	s_delay_alu instid0(VALU_DEP_1) | instskip(NEXT) | instid1(VALU_DEP_1)
	v_lshrrev_b32_e32 v5, 27, v5
	v_add_nc_u32_e32 v5, v4, v5
	s_delay_alu instid0(VALU_DEP_1) | instskip(NEXT) | instid1(VALU_DEP_1)
	v_and_b32_e32 v6, 0xffffffe0, v5
	v_dual_sub_nc_u32 v22, v4, v6 :: v_dual_ashrrev_i32 v4, 5, v5
	s_delay_alu instid0(VALU_DEP_1) | instskip(NEXT) | instid1(VALU_DEP_1)
	v_lshlrev_b32_e32 v5, 4, v22
	v_lshl_add_u32 v20, v4, 9, v5
	v_ashrrev_i32_e32 v5, 31, v4
	s_delay_alu instid0(VALU_DEP_2) | instskip(NEXT) | instid1(VALU_DEP_2)
	v_ashrrev_i32_e32 v21, 31, v20
	v_sub_nc_u64_e32 v[4:5], v[18:19], v[4:5]
	s_delay_alu instid0(VALU_DEP_2) | instskip(NEXT) | instid1(VALU_DEP_1)
	v_sub_nc_u64_e32 v[6:7], v[16:17], v[20:21]
	v_cmpx_lt_i64_e32 15, v[6:7]
	s_cbranch_execz .LBB10_27
; %bb.24:
	v_ashrrev_i16 v16, 15, v26
	v_add_nc_u64_e32 v[18:19], v[14:15], v[8:9]
	s_mov_b32 s4, 0
	s_delay_alu instid0(VALU_DEP_2) | instskip(NEXT) | instid1(VALU_DEP_2)
	v_lshrrev_b16 v16, 11, v16
	v_add_nc_u64_e32 v[18:19], v[18:19], v[20:21]
	s_delay_alu instid0(VALU_DEP_2) | instskip(NEXT) | instid1(VALU_DEP_1)
	v_add_nc_u16 v16, v26, v16
	v_ashrrev_i16 v16, 5, v16
	s_delay_alu instid0(VALU_DEP_1) | instskip(NEXT) | instid1(VALU_DEP_1)
	v_bfe_i32 v16, v16, 0, 16
	v_dual_lshlrev_b32 v8, 9, v16 :: v_dual_ashrrev_i32 v17, 31, v16
	s_delay_alu instid0(VALU_DEP_1)
	v_ashrrev_i32_e32 v9, 31, v8
.LBB10_25:                              ; =>This Inner Loop Header: Depth=1
	v_add_nc_u64_e32 v[20:21], v[12:13], v[18:19]
	s_delay_alu instid0(VALU_DEP_2) | instskip(NEXT) | instid1(VALU_DEP_4)
	v_sub_nc_u64_e32 v[6:7], v[6:7], v[8:9]
	v_sub_nc_u64_e32 v[4:5], v[4:5], v[16:17]
	global_load_b128 v[28:31], v[20:21], off th:TH_LOAD_NT
	v_cmp_gt_i64_e32 vcc_lo, 16, v[6:7]
	s_wait_xcnt 0x0
	v_add_nc_u64_e32 v[20:21], v[10:11], v[18:19]
	v_add_nc_u64_e32 v[18:19], v[18:19], v[8:9]
	s_or_b32 s4, vcc_lo, s4
	s_wait_loadcnt 0x0
	global_store_b128 v[20:21], v[28:31], off th:TH_STORE_NT
	s_wait_xcnt 0x0
	s_and_not1_b32 exec_lo, exec_lo, s4
	s_cbranch_execnz .LBB10_25
; %bb.26:
	s_or_b32 exec_lo, exec_lo, s4
.LBB10_27:
	s_delay_alu instid0(SALU_CYCLE_1) | instskip(NEXT) | instid1(SALU_CYCLE_1)
	s_or_b32 exec_lo, exec_lo, s3
	s_mov_b32 s3, exec_lo
	s_delay_alu instid0(VALU_DEP_3)
	v_cmpx_lt_i64_e32 0, v[4:5]
	s_cbranch_execz .LBB10_29
; %bb.28:
	v_ashrrev_i16 v6, 15, v26
	s_delay_alu instid0(VALU_DEP_1) | instskip(NEXT) | instid1(VALU_DEP_1)
	v_lshrrev_b16 v6, 11, v6
	v_add_nc_u16 v6, v26, v6
	s_delay_alu instid0(VALU_DEP_1) | instskip(NEXT) | instid1(VALU_DEP_1)
	v_ashrrev_i16 v6, 5, v6
	v_bfe_i32 v6, v6, 0, 16
	s_delay_alu instid0(VALU_DEP_1) | instskip(NEXT) | instid1(VALU_DEP_1)
	v_ashrrev_i32_e32 v7, 31, v6
	v_sub_nc_u64_e32 v[4:5], v[4:5], v[6:7]
.LBB10_29:
	s_or_b32 exec_lo, exec_lo, s3
	s_delay_alu instid0(VALU_DEP_1) | instskip(SKIP_1) | instid1(VALU_DEP_2)
	v_lshlrev_b32_e32 v4, 5, v4
	v_cmp_ne_u64_e32 vcc_lo, 0, v[2:3]
	v_sub_nc_u32_e32 v27, v22, v4
	s_and_b32 s3, vcc_lo, exec_lo
.LBB10_30:
	s_or_b32 exec_lo, exec_lo, s2
	v_mov_b64_e32 v[4:5], v[2:3]
	s_and_b32 exec_lo, exec_lo, s3
	s_cbranch_execz .LBB10_39
.LBB10_31:
	s_delay_alu instid0(VALU_DEP_1) | instskip(SKIP_1) | instid1(VALU_DEP_1)
	v_dual_ashrrev_i32 v2, 31, v27 :: v_dual_ashrrev_i32 v3, 31, v5
	s_mov_b32 s2, exec_lo
	v_dual_lshrrev_b32 v6, 27, v2 :: v_dual_lshrrev_b32 v2, 22, v3
	s_delay_alu instid0(VALU_DEP_1) | instskip(NEXT) | instid1(VALU_DEP_1)
	v_dual_mov_b32 v3, 0 :: v_dual_add_nc_u32 v16, v27, v6
	v_add_nc_u64_e32 v[6:7], v[4:5], v[2:3]
	s_delay_alu instid0(VALU_DEP_2) | instskip(NEXT) | instid1(VALU_DEP_2)
	v_ashrrev_i32_e32 v2, 5, v16
	v_ashrrev_i64 v[8:9], 10, v[6:7]
	s_delay_alu instid0(VALU_DEP_2) | instskip(NEXT) | instid1(VALU_DEP_1)
	v_ashrrev_i32_e32 v3, 31, v2
	v_sub_nc_u64_e32 v[6:7], v[8:9], v[2:3]
	s_delay_alu instid0(VALU_DEP_1)
	v_cmpx_lt_i64_e32 0, v[6:7]
	s_cbranch_execz .LBB10_35
; %bb.32:
	v_ashrrev_i16 v3, 15, v26
	v_and_b32_e32 v16, 0xffffffe0, v16
	v_add_nc_u64_e32 v[24:25], v[14:15], v[0:1]
	s_mov_b32 s3, 0
	s_delay_alu instid0(VALU_DEP_3) | instskip(NEXT) | instid1(VALU_DEP_3)
	v_lshrrev_b16 v3, 11, v3
	v_sub_nc_u32_e32 v17, v27, v16
	s_delay_alu instid0(VALU_DEP_3) | instskip(NEXT) | instid1(VALU_DEP_3)
	v_add_nc_u64_e32 v[22:23], v[24:25], v[12:13]
	v_add_nc_u16 v3, v26, v3
	v_add_nc_u64_e32 v[24:25], v[24:25], v[10:11]
	s_delay_alu instid0(VALU_DEP_2) | instskip(NEXT) | instid1(VALU_DEP_1)
	v_ashrrev_i16 v3, 5, v3
	v_bfe_i32 v16, v3, 0, 16
	s_delay_alu instid0(VALU_DEP_1) | instskip(SKIP_2) | instid1(VALU_DEP_2)
	v_lshlrev_b32_e32 v20, 10, v16
	v_lshl_add_u32 v18, v2, 10, v17
	v_ashrrev_i32_e32 v17, 31, v16
	v_dual_ashrrev_i32 v21, 31, v20 :: v_dual_ashrrev_i32 v19, 31, v18
.LBB10_33:                              ; =>This Inner Loop Header: Depth=1
	s_delay_alu instid0(VALU_DEP_1) | instskip(NEXT) | instid1(VALU_DEP_3)
	v_add_nc_u64_e32 v[28:29], v[18:19], v[22:23]
	v_sub_nc_u64_e32 v[6:7], v[6:7], v[16:17]
	s_delay_alu instid0(VALU_DEP_3)
	v_add_nc_u64_e32 v[22:23], v[22:23], v[20:21]
	s_clause 0x1f
	flat_load_u8 v3, v[28:29] th:TH_LOAD_NT
	flat_load_u8 v30, v[28:29] offset:32 th:TH_LOAD_NT
	flat_load_u8 v31, v[28:29] offset:64 th:TH_LOAD_NT
	;; [unrolled: 1-line block ×31, first 2 shown]
	v_cmp_gt_i64_e32 vcc_lo, 1, v[6:7]
	s_wait_xcnt 0x0
	v_add_nc_u64_e32 v[28:29], v[18:19], v[24:25]
	v_add_nc_u64_e32 v[24:25], v[24:25], v[20:21]
	s_wait_loadcnt_dscnt 0x1f1f
	flat_store_b8 v[28:29], v3 th:TH_STORE_NT
	s_wait_loadcnt_dscnt 0x1e1f
	flat_store_b8 v[28:29], v30 offset:32 th:TH_STORE_NT
	s_wait_loadcnt_dscnt 0x1d1f
	flat_store_b8 v[28:29], v31 offset:64 th:TH_STORE_NT
	;; [unrolled: 2-line block ×31, first 2 shown]
	s_or_b32 s3, vcc_lo, s3
	s_wait_xcnt 0x0
	s_and_not1_b32 exec_lo, exec_lo, s3
	s_cbranch_execnz .LBB10_33
; %bb.34:
	s_or_b32 exec_lo, exec_lo, s3
.LBB10_35:
	s_delay_alu instid0(SALU_CYCLE_1) | instskip(SKIP_1) | instid1(VALU_DEP_1)
	s_or_b32 exec_lo, exec_lo, s2
	v_lshlrev_b64_e32 v[8:9], 10, v[8:9]
	v_cmp_ne_u64_e32 vcc_lo, v[4:5], v[8:9]
	s_and_b32 exec_lo, exec_lo, vcc_lo
	s_cbranch_execz .LBB10_39
; %bb.36:
	v_lshlrev_b32_e32 v2, 5, v2
	v_lshlrev_b32_e32 v3, 5, v6
	s_delay_alu instid0(VALU_DEP_2) | instskip(NEXT) | instid1(VALU_DEP_1)
	v_sub_nc_u32_e32 v2, v27, v2
	v_sub_nc_u32_e32 v6, v2, v3
	s_delay_alu instid0(VALU_DEP_1) | instskip(NEXT) | instid1(VALU_DEP_1)
	v_ashrrev_i32_e32 v7, 31, v6
	v_add_nc_u64_e32 v[2:3], v[8:9], v[6:7]
	s_delay_alu instid0(VALU_DEP_1) | instskip(NEXT) | instid1(VALU_DEP_1)
	v_sub_nc_u64_e32 v[2:3], v[4:5], v[2:3]
	v_cmp_lt_i64_e32 vcc_lo, 0, v[2:3]
	s_and_b32 exec_lo, exec_lo, vcc_lo
	s_cbranch_execz .LBB10_39
; %bb.37:
	v_ashrrev_i16 v4, 15, v26
	v_add_nc_u64_e32 v[0:1], v[14:15], v[0:1]
	s_mov_b32 s2, 0
	s_delay_alu instid0(VALU_DEP_2) | instskip(NEXT) | instid1(VALU_DEP_1)
	v_lshrrev_b16 v4, 11, v4
	v_add_nc_u16 v4, v26, v4
	s_delay_alu instid0(VALU_DEP_1) | instskip(NEXT) | instid1(VALU_DEP_1)
	v_ashrrev_i16 v4, 5, v4
	v_bfe_i32 v14, v4, 0, 16
	v_add_nc_u64_e32 v[4:5], v[0:1], v[8:9]
	s_delay_alu instid0(VALU_DEP_2) | instskip(NEXT) | instid1(VALU_DEP_2)
	v_lshlrev_b32_e32 v0, 5, v14
	v_add_nc_u64_e32 v[4:5], v[4:5], v[6:7]
	s_delay_alu instid0(VALU_DEP_2)
	v_ashrrev_i32_e32 v1, 31, v0
.LBB10_38:                              ; =>This Inner Loop Header: Depth=1
	s_delay_alu instid0(VALU_DEP_2) | instskip(NEXT) | instid1(VALU_DEP_2)
	v_add_nc_u64_e32 v[6:7], v[12:13], v[4:5]
	v_sub_nc_u64_e32 v[2:3], v[2:3], v[0:1]
	flat_load_u8 v8, v[6:7] th:TH_LOAD_NT
	v_cmp_gt_i64_e32 vcc_lo, 1, v[2:3]
	s_wait_xcnt 0x0
	v_add_nc_u64_e32 v[6:7], v[10:11], v[4:5]
	v_add_nc_u64_e32 v[4:5], v[4:5], v[0:1]
	s_or_b32 s2, vcc_lo, s2
	s_wait_loadcnt_dscnt 0x0
	flat_store_b8 v[6:7], v8 th:TH_STORE_NT
	s_wait_xcnt 0x0
	s_and_not1_b32 exec_lo, exec_lo, s2
	s_cbranch_execnz .LBB10_38
.LBB10_39:
	s_or_b32 exec_lo, exec_lo, s0
                                        ; implicit-def: $vgpr50_vgpr51
                                        ; implicit-def: $vgpr14_vgpr15
                                        ; implicit-def: $vgpr4_vgpr5
                                        ; implicit-def: $vgpr48_vgpr49
                                        ; implicit-def: $vgpr3
                                        ; implicit-def: $vgpr2
                                        ; implicit-def: $vgpr0
                                        ; implicit-def: $vgpr31
                                        ; implicit-def: $vgpr12_vgpr13
                                        ; implicit-def: $vgpr8_vgpr9
	s_and_not1_saveexec_b32 s11, s1
	s_cbranch_execz .LBB10_10
.LBB10_40:
	s_load_b32 s0, s[8:9], 0x0
	s_bfe_u32 s1, ttmp6, 0x4000c
	s_and_b32 s2, ttmp6, 15
	s_add_co_i32 s1, s1, 1
	s_getreg_b32 s3, hwreg(HW_REG_IB_STS2, 6, 4)
	s_mul_i32 s1, ttmp9, s1
	v_mov_b32_e32 v1, 0
	s_add_co_i32 s2, s2, s1
	s_cmp_eq_u32 s3, 0
	s_mov_b32 s1, 0
	s_cselect_b32 s2, ttmp9, s2
	s_wait_loadcnt 0x2
	v_lshrrev_b64 v[8:9], 31, v[8:9]
	v_mov_b64_e32 v[16:17], 0
	s_delay_alu instid0(VALU_DEP_2) | instskip(SKIP_3) | instid1(VALU_DEP_1)
	v_and_b32_e32 v7, 3, v8
	s_wait_kmcnt 0x0
	s_cmp_lt_u32 s2, s0
	s_cselect_b32 s0, 12, 18
	v_and_b32_e32 v7, 0xffff, v7
	s_add_nc_u64 s[2:3], s[8:9], s[0:1]
	global_load_u16 v30, v1, s[2:3]
	s_wait_xcnt 0x0
	v_ashrrev_i32_e32 v1, 31, v0
	s_trap 2
	ds_load_b32 v18, v0
	v_lshrrev_b32_e32 v6, 27, v1
	s_delay_alu instid0(VALU_DEP_1) | instskip(NEXT) | instid1(VALU_DEP_1)
	v_add_nc_u32_e32 v6, v0, v6
	v_and_b32_e32 v6, 0xffffffe0, v6
	s_delay_alu instid0(VALU_DEP_1) | instskip(SKIP_3) | instid1(VALU_DEP_3)
	v_sub_nc_u32_e32 v6, v0, v6
	s_wait_dscnt 0x0
	v_cmp_gt_i32_e32 vcc_lo, 0, v18
	v_readfirstlane_b32 s3, v18
	v_cmp_eq_u32_e64 s0, 0, v6
	s_cbranch_vccnz .LBB10_42
; %bb.41:
	s_trap 2
	ds_load_b64 v[8:9], v0
	s_mov_b32 s1, 1
	s_wait_dscnt 0x0
	v_readfirstlane_b32 s4, v8
	v_readfirstlane_b32 s5, v9
	flat_load_b64 v[8:9], v18, s[4:5] scale_offset
	s_wait_loadcnt_dscnt 0x0
	v_mad_nc_u64_u32 v[8:9], 0xa8, v7, v[8:9]
	s_clause 0x1
	flat_load_b64 v[20:21], v[8:9] offset:504
	flat_load_b64 v[22:23], v[8:9] offset:608
	s_wait_xcnt 0x2
	v_add_nc_u64_e32 v[18:19], 0x1f8, v[8:9]
	s_wait_xcnt 0x0
	s_delay_alu instid0(VALU_DEP_1)
	v_dual_cndmask_b32 v9, 0, v19, s0 :: v_dual_cndmask_b32 v8, 0, v18, s0
	s_branch .LBB10_43
.LBB10_42:
	v_mov_b64_e32 v[18:19], 0
	v_mov_b64_e32 v[8:9], 0
                                        ; implicit-def: $vgpr22_vgpr23
                                        ; implicit-def: $vgpr20_vgpr21
.LBB10_43:
	s_trap 2
	ds_load_b32 v24, v0
	s_wait_dscnt 0x0
	v_cmp_gt_i32_e32 vcc_lo, 0, v24
	s_cbranch_vccnz .LBB10_45
; %bb.44:
	s_trap 2
	ds_load_b64 v[16:17], v0
	v_cmp_eq_u32_e32 vcc_lo, 0, v6
	s_wait_dscnt 0x0
	v_readfirstlane_b32 s4, v16
	v_readfirstlane_b32 s5, v17
	flat_load_b64 v[16:17], v24, s[4:5] scale_offset
	s_wait_loadcnt_dscnt 0x0
	v_mad_nc_u64_u32 v[16:17], 0xa8, v7, v[16:17]
	s_clause 0x1
	flat_load_b64 v[24:25], v[16:17]
	flat_load_b64 v[26:27], v[16:17] offset:104
	v_dual_cndmask_b32 v37, 0, v17 :: v_dual_cndmask_b32 v36, 0, v16
	s_branch .LBB10_46
.LBB10_45:
	v_mov_b64_e32 v[36:37], 0
                                        ; implicit-def: $vgpr26_vgpr27
                                        ; implicit-def: $vgpr24_vgpr25
.LBB10_46:
	v_subrev_nc_u32_e32 v28, 32, v2
	v_cmp_gt_i32_e32 vcc_lo, s1, v6
	v_mov_b64_e32 v[6:7], 0
	v_mov_b64_e32 v[32:33], 0
	s_delay_alu instid0(VALU_DEP_4)
	v_cmp_ge_i32_e64 s0, v0, v28
                                        ; implicit-def: $vgpr28_vgpr29
	s_and_b32 s12, s0, vcc_lo
	s_wait_xcnt 0x0
	s_and_saveexec_b32 s0, s12
	s_cbranch_execz .LBB10_48
; %bb.47:
	s_clause 0x1
	flat_load_b64 v[32:33], v[8:9] offset:56
	flat_load_b64 v[28:29], v[8:9] offset:104
.LBB10_48:
	s_wait_xcnt 0x0
	s_or_b32 exec_lo, exec_lo, s0
	v_mov_b64_e32 v[34:35], 0
	v_cmp_gt_i32_e64 s0, s1, v0
                                        ; implicit-def: $vgpr52_vgpr53
	s_and_saveexec_b32 s1, s0
	s_cbranch_execz .LBB10_50
; %bb.49:
	flat_load_b64 v[34:35], v[36:37] offset:56
	s_wait_loadcnt_dscnt 0x0
	flat_load_b64 v[52:53], v[34:35] scope:SCOPE_SYS
	s_wait_loadcnt 0x0
	flat_load_b128 v[6:9], v[36:37] offset:96
.LBB10_50:
	s_wait_xcnt 0x0
	s_or_b32 exec_lo, exec_lo, s1
	v_mov_b64_e32 v[36:37], 0
	s_wait_loadcnt 0x0
	v_and_b32_e32 v30, 0xffff, v30
	s_mov_b32 s13, exec_lo
	v_cmpx_ne_u64_e32 0, v[4:5]
	s_cbranch_execnz .LBB10_66
; %bb.51:
	s_or_b32 exec_lo, exec_lo, s13
	s_and_saveexec_b32 s1, s12
	s_cbranch_execnz .LBB10_339
.LBB10_52:
	s_or_b32 exec_lo, exec_lo, s1
	s_and_saveexec_b32 s1, s0
	s_cbranch_execz .LBB10_54
.LBB10_53:
	s_wait_dscnt 0x0
	flat_store_b64 v[16:17], v[8:9] offset:104
.LBB10_54:
	s_wait_xcnt 0x0
	s_or_b32 exec_lo, exec_lo, s1
	s_delay_alu instid0(SALU_CYCLE_1)
	s_mov_b32 s0, exec_lo
	v_cmpx_ne_u32_e32 32, v2
	s_cbranch_execz .LBB10_346
; %bb.55:
	s_mov_b32 s1, exec_lo
	v_cmpx_ne_u32_e64 v2, v30
	s_xor_b32 s1, exec_lo, s1
	s_cbranch_execz .LBB10_344
; %bb.56:
	v_and_b32_e32 v0, 31, v31
	s_mov_b32 s2, exec_lo
	s_delay_alu instid0(VALU_DEP_1)
	v_cmpx_eq_u32_e32 0, v0
	s_cbranch_execz .LBB10_343
; %bb.57:
	s_mov_b32 s4, exec_lo
	s_mov_b32 s3, exec_lo
	v_mbcnt_lo_u32_b32 v0, s4, 0
	global_wb scope:SCOPE_DEV
	s_wait_storecnt 0x0
	s_wait_loadcnt_dscnt 0x0
	global_inv scope:SCOPE_DEV
	v_cmpx_eq_u32_e32 0, v0
	s_cbranch_execz .LBB10_59
; %bb.58:
	s_bcnt1_i32_b32 s4, s4
	s_delay_alu instid0(SALU_CYCLE_1)
	v_dual_mov_b32 v1, 0 :: v_dual_mov_b32 v0, s4
	s_wait_loadcnt 0x0
	ds_add_u64 v0, v[0:1]
	s_trap 2
.LBB10_59:
	s_or_b32 exec_lo, exec_lo, s3
	s_trap 2
	ds_load_b64 v[4:5], v0
	s_wait_dscnt 0x0
	v_dual_mov_b32 v1, 0 :: v_dual_lshrrev_b32 v0, 5, v2
	s_mov_b32 s3, exec_lo
	s_delay_alu instid0(VALU_DEP_1) | instskip(NEXT) | instid1(VALU_DEP_1)
	v_add_nc_u64_e32 v[0:1], v[36:37], v[0:1]
	v_cmpx_lt_u64_e64 v[4:5], v[0:1]
	s_cbranch_execz .LBB10_342
; %bb.60:
	s_mov_b32 s4, 0
	s_mov_b32 s7, 0
                                        ; implicit-def: $sgpr5
                                        ; implicit-def: $sgpr6
	s_branch .LBB10_62
.LBB10_61:                              ;   in Loop: Header=BB10_62 Depth=1
	s_or_b32 exec_lo, exec_lo, s9
	s_delay_alu instid0(SALU_CYCLE_1) | instskip(NEXT) | instid1(SALU_CYCLE_1)
	s_and_b32 s8, exec_lo, s10
	s_or_b32 s4, s8, s4
	s_and_not1_b32 s5, s5, exec_lo
	s_and_b32 s8, s6, exec_lo
	s_delay_alu instid0(SALU_CYCLE_1)
	s_or_b32 s5, s5, s8
	s_and_not1_b32 exec_lo, exec_lo, s4
	s_cbranch_execz .LBB10_340
.LBB10_62:                              ; =>This Inner Loop Header: Depth=1
	s_add_co_i32 s7, s7, 1
	s_delay_alu instid0(SALU_CYCLE_1) | instskip(SKIP_1) | instid1(SALU_CYCLE_1)
	s_cmp_lg_u32 s7, 0x2710
	s_cselect_b32 s8, -1, 0
	s_and_b32 vcc_lo, exec_lo, s8
	s_cbranch_vccz .LBB10_64
; %bb.63:                               ;   in Loop: Header=BB10_62 Depth=1
	s_mov_b32 s10, -1
	s_or_b32 s6, s6, exec_lo
	s_and_saveexec_b32 s9, s8
	s_cbranch_execz .LBB10_61
	s_branch .LBB10_65
.LBB10_64:                              ;   in Loop: Header=BB10_62 Depth=1
	s_trap 2
	ds_load_b64 v[2:3], v0
	s_and_not1_b32 s8, s8, exec_lo
	s_mov_b32 s7, 0
	s_wait_loadcnt_dscnt 0x0
	flat_load_b32 v2, v[2:3] scope:SCOPE_SYS
	s_wait_loadcnt_dscnt 0x0
	global_inv scope:SCOPE_SYS
	v_cmp_eq_u32_e32 vcc_lo, 0, v2
	s_and_b32 s9, vcc_lo, exec_lo
	s_delay_alu instid0(SALU_CYCLE_1)
	s_or_b32 s8, s8, s9
	s_mov_b32 s10, -1
	s_or_b32 s6, s6, exec_lo
	s_and_saveexec_b32 s9, s8
	s_cbranch_execz .LBB10_61
.LBB10_65:                              ;   in Loop: Header=BB10_62 Depth=1
	s_sleep 1
	s_trap 2
	ds_load_b64 v[2:3], v0
	s_wait_dscnt 0x0
	s_and_not1_b32 s6, s6, exec_lo
	v_cmp_ge_u64_e32 vcc_lo, v[2:3], v[0:1]
	s_or_not1_b32 s10, vcc_lo, exec_lo
	s_branch .LBB10_61
.LBB10_66:
	v_cvt_f64_u32_e32 v[36:37], 0
	v_dual_mov_b32 v49, 0 :: v_dual_lshlrev_b32 v38, 4, v48
	v_lshlrev_b32_e32 v54, 3, v0
	v_cmp_ne_u32_e64 s1, v50, v3
	v_cmp_ne_u32_e64 s2, v51, v3
	s_delay_alu instid0(VALU_DEP_4) | instskip(SKIP_3) | instid1(VALU_DEP_3)
	v_and_b32_e32 v38, 0x1fffff0, v38
	v_dual_mov_b32 v39, v49 :: v_dual_bitop2_b32 v3, 31, v31 bitop3:0x40
	v_lshrrev_b32_e32 v66, 5, v2
	s_ashr_i32 s4, s3, 31
	v_cvt_f64_u32_e32 v[64:65], v38
	s_lshr_b32 s4, s4, 29
	v_cmp_eq_u32_e64 s7, 0, v3
	v_dual_mov_b32 v3, v49 :: v_dual_mov_b32 v69, v49
	v_and_b32_e32 v48, 0x1fffff, v48
	s_add_co_i32 s3, s3, s4
	v_cmp_ne_u64_e32 vcc_lo, v[12:13], v[10:11]
	v_mov_b64_e32 v[50:51], 0
	s_ashr_i32 s14, s3, 7
	v_cmp_ne_u64_e64 s3, 0, v[34:35]
	s_wait_dscnt 0x0
	v_cmp_ne_u64_e64 s4, 0, v[6:7]
	v_cmp_ne_u64_e64 s8, 0, v[32:33]
	v_lshlrev_b64_e32 v[82:83], 4, v[2:3]
	v_cmp_ne_u32_e64 s5, 32, v2
	v_cmp_ne_u32_e64 s6, v2, v30
	v_dual_mov_b32 v67, v49 :: v_dual_lshlrev_b32 v68, 3, v2
	v_lshl_add_u64 v[86:87], v[0:1], 4, v[24:25]
	v_mov_b32_e32 v116, 0
	s_xor_b32 s9, s10, -1
	v_ldexp_f64 v[36:37], v[36:37], 32
	s_mov_b32 s10, 0
	s_and_b32 s15, s9, vcc_lo
	v_dual_ashrrev_i32 v55, 31, v54 :: v_dual_mov_b32 v115, 1
	v_lshlrev_b32_e32 v114, 6, v2
	s_delay_alu instid0(VALU_DEP_2) | instskip(NEXT) | instid1(VALU_DEP_4)
	v_add_nc_u64_e32 v[70:71], v[10:11], v[54:55]
	v_add_f64_e32 v[64:65], v[36:37], v[64:65]
	v_add_nc_u64_e32 v[36:37], v[14:15], v[54:55]
	v_lshlrev_b32_e32 v55, 7, v48
	s_delay_alu instid0(VALU_DEP_2) | instskip(SKIP_2) | instid1(VALU_DEP_3)
	v_add_nc_u64_e32 v[80:81], v[36:37], v[12:13]
	v_add_nc_u64_e32 v[84:85], v[10:11], v[36:37]
	v_mov_b64_e32 v[36:37], 0
	v_lshlrev_b32_e32 v3, 3, v80
	s_branch .LBB10_70
.LBB10_67:                              ;   in Loop: Header=BB10_70 Depth=1
	s_or_b32 exec_lo, exec_lo, s9
	v_add_nc_u64_e32 v[26:27], 1, v[26:27]
.LBB10_68:                              ;   in Loop: Header=BB10_70 Depth=1
	s_or_b32 exec_lo, exec_lo, s17
.LBB10_69:                              ;   in Loop: Header=BB10_70 Depth=1
	s_delay_alu instid0(SALU_CYCLE_1) | instskip(SKIP_4) | instid1(VALU_DEP_4)
	s_or_b32 exec_lo, exec_lo, s16
	v_add_nc_u64_e32 v[50:51], v[50:51], v[38:39]
	v_add_nc_u64_e32 v[80:81], v[80:81], v[38:39]
	;; [unrolled: 1-line block ×3, first 2 shown]
	v_add_nc_u32_e32 v3, v3, v55
	v_cmp_ge_u64_e32 vcc_lo, v[50:51], v[4:5]
	s_or_b32 s10, vcc_lo, s10
	s_delay_alu instid0(SALU_CYCLE_1)
	s_and_not1_b32 exec_lo, exec_lo, s10
	s_cbranch_execz .LBB10_338
.LBB10_70:                              ; =>This Loop Header: Depth=1
                                        ;     Child Loop BB10_77 Depth 2
                                        ;     Child Loop BB10_96 Depth 2
	;; [unrolled: 1-line block ×3, first 2 shown]
                                        ;       Child Loop BB10_140 Depth 3
                                        ;     Child Loop BB10_206 Depth 2
                                        ;     Child Loop BB10_113 Depth 2
	;; [unrolled: 1-line block ×3, first 2 shown]
                                        ;       Child Loop BB10_172 Depth 3
                                        ;     Child Loop BB10_218 Depth 2
                                        ;     Child Loop BB10_128 Depth 2
	;; [unrolled: 1-line block ×9, first 2 shown]
	s_wait_loadcnt 0x0
	v_sub_nc_u64_e32 v[10:11], v[4:5], v[50:51]
	s_delay_alu instid0(VALU_DEP_1) | instskip(NEXT) | instid1(VALU_DEP_2)
	v_cvt_f64_u32_e32 v[12:13], v11
	v_cvt_f64_u32_e32 v[10:11], v10
	s_delay_alu instid0(VALU_DEP_2) | instskip(NEXT) | instid1(VALU_DEP_1)
	v_ldexp_f64 v[12:13], v[12:13], 32
	v_add_f64_e32 v[10:11], v[12:13], v[10:11]
	v_max_num_f64_e32 v[12:13], v[64:65], v[64:65]
	s_delay_alu instid0(VALU_DEP_1) | instskip(NEXT) | instid1(VALU_DEP_1)
	v_min_num_f64_e32 v[10:11], v[12:13], v[10:11]
	v_cvt_i32_f64_e32 v1, v[10:11]
	s_delay_alu instid0(VALU_DEP_1) | instskip(SKIP_1) | instid1(SALU_CYCLE_1)
	v_max_i32_e32 v1, 0, v1
	s_and_saveexec_b32 s9, s1
	s_xor_b32 s16, exec_lo, s9
	s_cbranch_execz .LBB10_121
; %bb.71:                               ;   in Loop: Header=BB10_70 Depth=1
	v_add_nc_u64_e32 v[10:11], v[50:51], v[14:15]
	s_and_saveexec_b32 s9, s2
	s_delay_alu instid0(SALU_CYCLE_1)
	s_xor_b32 s17, exec_lo, s9
	s_cbranch_execz .LBB10_115
; %bb.72:                               ;   in Loop: Header=BB10_70 Depth=1
	s_and_saveexec_b32 s18, s3
	s_cbranch_execz .LBB10_88
; %bb.73:                               ;   in Loop: Header=BB10_70 Depth=1
	v_add_nc_u64_e32 v[12:13], 1, v[8:9]
	s_wait_dscnt 0x0
	v_add_nc_u64_e32 v[96:97], 8, v[52:53]
	s_mov_b32 s19, exec_lo
	s_delay_alu instid0(VALU_DEP_1)
	v_cmpx_lt_u64_e64 v[96:97], v[12:13]
	s_cbranch_execz .LBB10_85
; %bb.74:                               ;   in Loop: Header=BB10_70 Depth=1
	s_mov_b32 s20, 0
	s_mov_b32 s24, 0
	v_cmp_eq_u32_e32 vcc_lo, 0, v116
                                        ; implicit-def: $sgpr21
                                        ; implicit-def: $sgpr22
                                        ; implicit-def: $sgpr23
	s_branch .LBB10_77
.LBB10_75:                              ;   in Loop: Header=BB10_77 Depth=2
	s_or_b32 exec_lo, exec_lo, s29
	s_delay_alu instid0(SALU_CYCLE_1)
	s_and_not1_b32 s9, s23, exec_lo
	s_and_b32 s23, s27, exec_lo
	s_and_not1_b32 s22, s22, exec_lo
	s_and_b32 s26, s26, exec_lo
	s_or_b32 s23, s9, s23
	s_or_b32 s22, s22, s26
.LBB10_76:                              ;   in Loop: Header=BB10_77 Depth=2
	s_or_b32 exec_lo, exec_lo, s25
	s_delay_alu instid0(SALU_CYCLE_1) | instskip(NEXT) | instid1(SALU_CYCLE_1)
	s_and_b32 s9, exec_lo, s22
	s_or_b32 s20, s9, s20
	s_and_not1_b32 s9, s21, exec_lo
	s_and_b32 s21, s23, exec_lo
	s_delay_alu instid0(SALU_CYCLE_1)
	s_or_b32 s21, s9, s21
	s_and_not1_b32 exec_lo, exec_lo, s20
	s_cbranch_execz .LBB10_82
.LBB10_77:                              ;   Parent Loop BB10_70 Depth=1
                                        ; =>  This Inner Loop Header: Depth=2
	s_sleep 1
	s_wait_loadcnt_dscnt 0x0
	flat_load_b64 v[52:53], v[34:35] scope:SCOPE_DEV
	v_mov_b32_e32 v116, 1
	s_or_b32 s23, s23, exec_lo
	s_or_b32 s22, s22, exec_lo
                                        ; implicit-def: $vgpr9
	s_wait_xcnt 0x0
	s_and_saveexec_b32 s25, vcc_lo
	s_cbranch_execz .LBB10_76
; %bb.78:                               ;   in Loop: Header=BB10_77 Depth=2
	s_add_co_i32 s24, s24, 1
	s_mov_b32 s26, -1
	s_cmp_lg_u32 s24, 0x2710
	s_mov_b32 s27, -1
	s_cselect_b32 s28, -1, 0
	s_cmp_eq_u32 s24, 0x2710
                                        ; implicit-def: $vgpr9
	s_cbranch_scc1 .LBB10_80
; %bb.79:                               ;   in Loop: Header=BB10_77 Depth=2
	v_mov_b32_e32 v116, 1
	s_and_saveexec_b32 s29, s28
	s_cbranch_execz .LBB10_75
	s_branch .LBB10_81
.LBB10_80:                              ;   in Loop: Header=BB10_77 Depth=2
	s_trap 2
	ds_load_b64 v[96:97], v0
	s_and_not1_b32 s24, s28, exec_lo
	s_mov_b32 s27, 0
	s_wait_storecnt 0x0
	s_wait_loadcnt_dscnt 0x0
	flat_load_b32 v9, v[96:97] scope:SCOPE_SYS
	s_wait_loadcnt_dscnt 0x0
	global_inv scope:SCOPE_SYS
	v_cmp_eq_u32_e64 s9, 0, v9
	s_and_b32 s9, s9, exec_lo
	s_delay_alu instid0(SALU_CYCLE_1)
	s_or_b32 s28, s24, s9
	s_mov_b32 s24, 0
	v_mov_b32_e32 v116, 1
	s_and_saveexec_b32 s29, s28
	s_cbranch_execz .LBB10_75
.LBB10_81:                              ;   in Loop: Header=BB10_77 Depth=2
	s_wait_loadcnt_dscnt 0x0
	v_add_nc_u64_e32 v[96:97], 8, v[52:53]
	v_mov_b32_e32 v116, 0
	s_or_b32 s27, s27, exec_lo
	s_delay_alu instid0(VALU_DEP_2)
	v_cmp_ge_u64_e64 s9, v[96:97], v[12:13]
	s_or_not1_b32 s26, s9, exec_lo
	s_branch .LBB10_75
.LBB10_82:                              ;   in Loop: Header=BB10_70 Depth=1
	s_or_b32 exec_lo, exec_lo, s20
	s_xor_b32 s9, s21, -1
	s_delay_alu instid0(SALU_CYCLE_1) | instskip(NEXT) | instid1(SALU_CYCLE_1)
	s_and_saveexec_b32 s20, s9
	s_xor_b32 s9, exec_lo, s20
	s_cbranch_execz .LBB10_84
; %bb.83:                               ;   in Loop: Header=BB10_70 Depth=1
	v_mov_b32_e32 v116, 1
	s_wait_storecnt 0x0
	s_wait_loadcnt_dscnt 0x0
	ds_store_b32 v0, v9
	s_trap 2
.LBB10_84:                              ;   in Loop: Header=BB10_70 Depth=1
	s_or_b32 exec_lo, exec_lo, s9
.LBB10_85:                              ;   in Loop: Header=BB10_70 Depth=1
	s_delay_alu instid0(SALU_CYCLE_1)
	s_or_b32 exec_lo, exec_lo, s19
	s_and_saveexec_b32 s9, s4
	s_cbranch_execz .LBB10_87
; %bb.86:                               ;   in Loop: Header=BB10_70 Depth=1
	v_add_nc_u32_e32 v9, 7, v1
	s_delay_alu instid0(VALU_DEP_1) | instskip(NEXT) | instid1(VALU_DEP_1)
	v_ashrrev_i32_e32 v48, 31, v9
	v_lshrrev_b32_e32 v48, 29, v48
	s_delay_alu instid0(VALU_DEP_1) | instskip(SKIP_1) | instid1(VALU_DEP_2)
	v_add_nc_u32_e32 v9, v9, v48
	v_and_b32_e32 v48, 0x7ffffff8, v8
	v_dual_lshrrev_b32 v9, 3, v9 :: v_dual_bitop2_b32 v8, 7, v8 bitop3:0x40
	s_delay_alu instid0(VALU_DEP_2) | instskip(NEXT) | instid1(VALU_DEP_2)
	v_cmp_eq_u64_e32 vcc_lo, 0x7ffffff8, v[48:49]
	v_cndmask_b32_e64 v48, v9, s14, vcc_lo
	s_delay_alu instid0(VALU_DEP_3) | instskip(NEXT) | instid1(VALU_DEP_2)
	v_mad_nc_u64_u32 v[8:9], v8, 24, v[6:7]
	v_lshlrev_b32_e32 v96, 4, v48
	s_delay_alu instid0(VALU_DEP_1)
	v_ashrrev_i32_e32 v97, 31, v96
	flat_store_b64 v[8:9], v[96:97] offset:8 scope:SCOPE_SYS
	s_wait_storecnt 0x0
.LBB10_87:                              ;   in Loop: Header=BB10_70 Depth=1
	s_wait_xcnt 0x0
	s_or_b32 exec_lo, exec_lo, s9
	v_mov_b64_e32 v[8:9], v[12:13]
.LBB10_88:                              ;   in Loop: Header=BB10_70 Depth=1
	s_or_b32 exec_lo, exec_lo, s18
	s_and_saveexec_b32 s9, s5
	s_cbranch_execz .LBB10_107
; %bb.89:                               ;   in Loop: Header=BB10_70 Depth=1
	s_and_saveexec_b32 s18, s6
	s_delay_alu instid0(SALU_CYCLE_1)
	s_xor_b32 s18, exec_lo, s18
	s_cbranch_execz .LBB10_104
; %bb.90:                               ;   in Loop: Header=BB10_70 Depth=1
	s_and_saveexec_b32 s19, s7
	s_cbranch_execz .LBB10_103
; %bb.91:                               ;   in Loop: Header=BB10_70 Depth=1
	s_mov_b32 s21, exec_lo
	s_mov_b32 s20, exec_lo
	v_mbcnt_lo_u32_b32 v12, s21, 0
	global_wb scope:SCOPE_DEV
	s_wait_storecnt 0x0
	s_wait_loadcnt_dscnt 0x0
	global_inv scope:SCOPE_DEV
	v_cmpx_eq_u32_e32 0, v12
	s_cbranch_execz .LBB10_93
; %bb.92:                               ;   in Loop: Header=BB10_70 Depth=1
	s_bcnt1_i32_b32 s21, s21
	s_delay_alu instid0(SALU_CYCLE_1)
	v_mov_b32_e32 v48, s21
	s_wait_loadcnt 0x0
	ds_add_u64 v0, v[48:49]
	s_trap 2
.LBB10_93:                              ;   in Loop: Header=BB10_70 Depth=1
	s_or_b32 exec_lo, exec_lo, s20
	s_trap 2
	ds_load_b64 v[12:13], v0
	s_wait_dscnt 0x0
	v_add_nc_u64_e32 v[36:37], v[36:37], v[66:67]
	s_mov_b32 s20, exec_lo
	s_delay_alu instid0(VALU_DEP_1)
	v_cmpx_lt_u64_e64 v[12:13], v[36:37]
	s_cbranch_execz .LBB10_102
; %bb.94:                               ;   in Loop: Header=BB10_70 Depth=1
	s_mov_b32 s21, 0
	s_mov_b32 s24, 0
                                        ; implicit-def: $sgpr22
                                        ; implicit-def: $sgpr23
	s_branch .LBB10_96
.LBB10_95:                              ;   in Loop: Header=BB10_96 Depth=2
	s_or_b32 exec_lo, exec_lo, s26
	s_delay_alu instid0(SALU_CYCLE_1) | instskip(NEXT) | instid1(SALU_CYCLE_1)
	s_and_b32 s25, exec_lo, s27
	s_or_b32 s21, s25, s21
	s_and_not1_b32 s22, s22, exec_lo
	s_and_b32 s25, s23, exec_lo
	s_delay_alu instid0(SALU_CYCLE_1)
	s_or_b32 s22, s22, s25
	s_and_not1_b32 exec_lo, exec_lo, s21
	s_cbranch_execz .LBB10_100
.LBB10_96:                              ;   Parent Loop BB10_70 Depth=1
                                        ; =>  This Inner Loop Header: Depth=2
	s_add_co_i32 s24, s24, 1
	s_delay_alu instid0(SALU_CYCLE_1) | instskip(SKIP_1) | instid1(SALU_CYCLE_1)
	s_cmp_lg_u32 s24, 0x2710
	s_cselect_b32 s25, -1, 0
	s_and_b32 vcc_lo, exec_lo, s25
	s_cbranch_vccz .LBB10_98
; %bb.97:                               ;   in Loop: Header=BB10_96 Depth=2
	s_mov_b32 s27, -1
	s_or_b32 s23, s23, exec_lo
	s_and_saveexec_b32 s26, s25
	s_cbranch_execz .LBB10_95
	s_branch .LBB10_99
.LBB10_98:                              ;   in Loop: Header=BB10_96 Depth=2
	s_trap 2
	ds_load_b64 v[12:13], v0
	s_and_not1_b32 s25, s25, exec_lo
	s_mov_b32 s24, 0
	s_wait_loadcnt_dscnt 0x0
	flat_load_b32 v12, v[12:13] scope:SCOPE_SYS
	s_wait_loadcnt_dscnt 0x0
	global_inv scope:SCOPE_SYS
	v_cmp_eq_u32_e32 vcc_lo, 0, v12
	s_and_b32 s26, vcc_lo, exec_lo
	s_delay_alu instid0(SALU_CYCLE_1)
	s_or_b32 s25, s25, s26
	s_mov_b32 s27, -1
	s_or_b32 s23, s23, exec_lo
	s_and_saveexec_b32 s26, s25
	s_cbranch_execz .LBB10_95
.LBB10_99:                              ;   in Loop: Header=BB10_96 Depth=2
	s_sleep 1
	s_trap 2
	ds_load_b64 v[12:13], v0
	s_wait_dscnt 0x0
	s_and_not1_b32 s23, s23, exec_lo
	v_cmp_ge_u64_e32 vcc_lo, v[12:13], v[36:37]
	s_or_not1_b32 s27, vcc_lo, exec_lo
	s_branch .LBB10_95
.LBB10_100:                             ;   in Loop: Header=BB10_70 Depth=1
	s_or_b32 exec_lo, exec_lo, s21
	s_and_saveexec_b32 s21, s22
	s_delay_alu instid0(SALU_CYCLE_1)
	s_xor_b32 s21, exec_lo, s21
	s_cbranch_execz .LBB10_102
; %bb.101:                              ;   in Loop: Header=BB10_70 Depth=1
	ds_store_b32 v0, v115
	s_trap 2
.LBB10_102:                             ;   in Loop: Header=BB10_70 Depth=1
	s_or_b32 exec_lo, exec_lo, s20
	;;#ASMSTART
	s_wakeup
	;;#ASMEND
.LBB10_103:                             ;   in Loop: Header=BB10_70 Depth=1
	s_or_b32 exec_lo, exec_lo, s19
.LBB10_104:                             ;   in Loop: Header=BB10_70 Depth=1
	s_and_not1_saveexec_b32 s18, s18
	s_cbranch_execz .LBB10_106
; %bb.105:                              ;   in Loop: Header=BB10_70 Depth=1
	global_wb scope:SCOPE_DEV
	s_wait_storecnt 0x0
	s_wait_loadcnt_dscnt 0x0
	global_inv scope:SCOPE_DEV
	s_barrier_signal -1
	s_barrier_wait -1
.LBB10_106:                             ;   in Loop: Header=BB10_70 Depth=1
	s_or_b32 exec_lo, exec_lo, s18
.LBB10_107:                             ;   in Loop: Header=BB10_70 Depth=1
	s_delay_alu instid0(SALU_CYCLE_1) | instskip(SKIP_2) | instid1(VALU_DEP_1)
	s_or_b32 exec_lo, exec_lo, s9
	v_dual_sub_nc_u32 v48, v1, v54 :: v_dual_mov_b32 v96, v0
	s_mov_b32 s18, exec_lo
	v_cmpx_lt_i32_e32 0, v48
	s_cbranch_execnz .LBB10_134
; %bb.108:                              ;   in Loop: Header=BB10_70 Depth=1
	s_or_b32 exec_lo, exec_lo, s18
	s_and_saveexec_b32 s9, s5
	s_cbranch_execnz .LBB10_199
.LBB10_109:                             ;   in Loop: Header=BB10_70 Depth=1
	s_or_b32 exec_lo, exec_lo, s9
	s_and_saveexec_b32 s9, s8
	s_cbranch_execz .LBB10_111
.LBB10_110:                             ;   in Loop: Header=BB10_70 Depth=1
	v_add_nc_u64_e32 v[28:29], 1, v[28:29]
	global_wb scope:SCOPE_SYS
	s_wait_storecnt 0x0
	s_wait_loadcnt_dscnt 0x0
	flat_store_b64 v[32:33], v[28:29] scope:SCOPE_SYS
.LBB10_111:                             ;   in Loop: Header=BB10_70 Depth=1
	s_wait_xcnt 0x0
	s_or_b32 exec_lo, exec_lo, s9
	v_and_b32_e32 v48, 0x7ffffff8, v26
	v_cmp_gt_i32_e64 s9, s14, v96
	s_delay_alu instid0(VALU_DEP_2) | instskip(SKIP_1) | instid1(SALU_CYCLE_1)
	v_cmp_eq_u64_e32 vcc_lo, 0x7ffffff8, v[48:49]
	s_and_b32 s18, vcc_lo, s9
	s_and_saveexec_b32 s9, s18
	s_cbranch_execz .LBB10_114
; %bb.112:                              ;   in Loop: Header=BB10_70 Depth=1
	v_dual_ashrrev_i32 v97, 31, v96 :: v_dual_bitop2_b32 v1, 7, v26 bitop3:0x40
	s_mov_b32 s18, 0
	s_delay_alu instid0(VALU_DEP_1) | instskip(NEXT) | instid1(VALU_DEP_1)
	v_mul_lo_u32 v10, v1, s14
	v_ashrrev_i32_e32 v11, 31, v10
	s_delay_alu instid0(VALU_DEP_1) | instskip(NEXT) | instid1(VALU_DEP_1)
	v_lshlrev_b64_e32 v[10:11], 4, v[10:11]
	v_lshl_add_u64 v[10:11], v[96:97], 4, v[10:11]
	s_delay_alu instid0(VALU_DEP_1)
	v_add_nc_u64_e32 v[98:99], v[24:25], v[10:11]
	v_dual_mov_b32 v10, v49 :: v_dual_add_nc_u32 v11, 1, v26
.LBB10_113:                             ;   Parent Loop BB10_70 Depth=1
                                        ; =>  This Inner Loop Header: Depth=2
	s_delay_alu instid0(VALU_DEP_1) | instskip(NEXT) | instid1(VALU_DEP_2)
	v_dual_mov_b32 v12, v10 :: v_dual_add_nc_u32 v96, v96, v2
	v_mov_b32_e32 v13, v11
	s_delay_alu instid0(VALU_DEP_2) | instskip(SKIP_4) | instid1(SALU_CYCLE_1)
	v_cmp_le_i32_e32 vcc_lo, s14, v96
	global_store_b128 v[98:99], v[10:13], off
	s_wait_xcnt 0x0
	v_add_nc_u64_e32 v[98:99], v[98:99], v[82:83]
	s_or_b32 s18, vcc_lo, s18
	s_and_not1_b32 exec_lo, exec_lo, s18
	s_cbranch_execnz .LBB10_113
.LBB10_114:                             ;   in Loop: Header=BB10_70 Depth=1
	s_or_b32 exec_lo, exec_lo, s9
	v_add_nc_u64_e32 v[22:23], 1, v[22:23]
	v_add_nc_u64_e32 v[26:27], 1, v[26:27]
                                        ; implicit-def: $vgpr1
                                        ; implicit-def: $vgpr10_vgpr11
.LBB10_115:                             ;   in Loop: Header=BB10_70 Depth=1
	s_and_not1_saveexec_b32 s17, s17
	s_cbranch_execz .LBB10_133
; %bb.116:                              ;   in Loop: Header=BB10_70 Depth=1
	v_sub_nc_u32_e32 v1, v1, v54
	s_mov_b32 s18, exec_lo
	s_delay_alu instid0(VALU_DEP_1)
	v_cmpx_lt_i32_e32 0, v1
	s_cbranch_execnz .LBB10_166
; %bb.117:                              ;   in Loop: Header=BB10_70 Depth=1
	s_or_b32 exec_lo, exec_lo, s18
	s_and_saveexec_b32 s9, s5
	s_cbranch_execnz .LBB10_211
.LBB10_118:                             ;   in Loop: Header=BB10_70 Depth=1
	s_or_b32 exec_lo, exec_lo, s9
	s_and_saveexec_b32 s9, s8
	s_cbranch_execz .LBB10_120
.LBB10_119:                             ;   in Loop: Header=BB10_70 Depth=1
	v_add_nc_u64_e32 v[28:29], 1, v[28:29]
	global_wb scope:SCOPE_SYS
	s_wait_storecnt 0x0
	s_wait_loadcnt_dscnt 0x0
	flat_store_b64 v[32:33], v[28:29] scope:SCOPE_SYS
.LBB10_120:                             ;   in Loop: Header=BB10_70 Depth=1
	s_wait_xcnt 0x0
	s_or_b32 exec_lo, exec_lo, s9
	v_add_nc_u64_e32 v[22:23], 1, v[22:23]
	s_or_b32 exec_lo, exec_lo, s17
                                        ; implicit-def: $vgpr1
.LBB10_121:                             ;   in Loop: Header=BB10_70 Depth=1
	s_and_not1_saveexec_b32 s16, s16
	s_cbranch_execz .LBB10_69
.LBB10_122:                             ;   in Loop: Header=BB10_70 Depth=1
	s_wait_loadcnt 0x0
	v_add_nc_u32_e32 v10, 7, v1
	s_delay_alu instid0(VALU_DEP_1) | instskip(NEXT) | instid1(VALU_DEP_1)
	v_ashrrev_i32_e32 v11, 31, v10
	v_lshrrev_b32_e32 v11, 29, v11
	s_delay_alu instid0(VALU_DEP_1) | instskip(NEXT) | instid1(VALU_DEP_1)
	v_add_nc_u32_e32 v10, v10, v11
	v_ashrrev_i32_e32 v12, 3, v10
	s_and_saveexec_b32 s9, s15
	s_delay_alu instid0(SALU_CYCLE_1)
	s_xor_b32 s17, exec_lo, s9
	s_cbranch_execz .LBB10_291
; %bb.123:                              ;   in Loop: Header=BB10_70 Depth=1
	s_and_saveexec_b32 s18, s3
	s_cbranch_execz .LBB10_228
; %bb.124:                              ;   in Loop: Header=BB10_70 Depth=1
	v_add_nc_u64_e32 v[10:11], 1, v[8:9]
	s_wait_dscnt 0x0
	v_add_nc_u64_e32 v[96:97], 8, v[52:53]
	s_mov_b32 s19, exec_lo
	s_delay_alu instid0(VALU_DEP_1)
	v_cmpx_lt_u64_e64 v[96:97], v[10:11]
	s_cbranch_execz .LBB10_225
; %bb.125:                              ;   in Loop: Header=BB10_70 Depth=1
	s_mov_b32 s20, 0
	s_mov_b32 s24, 0
	v_cmp_eq_u32_e32 vcc_lo, 0, v116
                                        ; implicit-def: $sgpr21
                                        ; implicit-def: $sgpr22
                                        ; implicit-def: $sgpr23
	s_branch .LBB10_128
.LBB10_126:                             ;   in Loop: Header=BB10_128 Depth=2
	s_or_b32 exec_lo, exec_lo, s29
	s_delay_alu instid0(SALU_CYCLE_1)
	s_and_not1_b32 s9, s23, exec_lo
	s_and_b32 s23, s27, exec_lo
	s_and_not1_b32 s22, s22, exec_lo
	s_and_b32 s26, s26, exec_lo
	s_or_b32 s23, s9, s23
	s_or_b32 s22, s22, s26
.LBB10_127:                             ;   in Loop: Header=BB10_128 Depth=2
	s_or_b32 exec_lo, exec_lo, s25
	s_delay_alu instid0(SALU_CYCLE_1) | instskip(NEXT) | instid1(SALU_CYCLE_1)
	s_and_b32 s9, exec_lo, s22
	s_or_b32 s20, s9, s20
	s_and_not1_b32 s9, s21, exec_lo
	s_and_b32 s21, s23, exec_lo
	s_delay_alu instid0(SALU_CYCLE_1)
	s_or_b32 s21, s9, s21
	s_and_not1_b32 exec_lo, exec_lo, s20
	s_cbranch_execz .LBB10_222
.LBB10_128:                             ;   Parent Loop BB10_70 Depth=1
                                        ; =>  This Inner Loop Header: Depth=2
	s_sleep 1
	s_wait_loadcnt_dscnt 0x0
	flat_load_b64 v[52:53], v[34:35] scope:SCOPE_DEV
	v_mov_b32_e32 v116, 1
	s_or_b32 s23, s23, exec_lo
	s_or_b32 s22, s22, exec_lo
                                        ; implicit-def: $vgpr9
	s_wait_xcnt 0x0
	s_and_saveexec_b32 s25, vcc_lo
	s_cbranch_execz .LBB10_127
; %bb.129:                              ;   in Loop: Header=BB10_128 Depth=2
	s_add_co_i32 s24, s24, 1
	s_mov_b32 s26, -1
	s_cmp_lg_u32 s24, 0x2710
	s_mov_b32 s27, -1
	s_cselect_b32 s28, -1, 0
	s_cmp_eq_u32 s24, 0x2710
                                        ; implicit-def: $vgpr9
	s_cbranch_scc1 .LBB10_131
; %bb.130:                              ;   in Loop: Header=BB10_128 Depth=2
	v_mov_b32_e32 v116, 1
	s_and_saveexec_b32 s29, s28
	s_cbranch_execz .LBB10_126
	s_branch .LBB10_132
.LBB10_131:                             ;   in Loop: Header=BB10_128 Depth=2
	s_trap 2
	ds_load_b64 v[96:97], v0
	s_and_not1_b32 s24, s28, exec_lo
	s_mov_b32 s27, 0
	s_wait_storecnt 0x0
	s_wait_loadcnt_dscnt 0x0
	flat_load_b32 v9, v[96:97] scope:SCOPE_SYS
	s_wait_loadcnt_dscnt 0x0
	global_inv scope:SCOPE_SYS
	v_cmp_eq_u32_e64 s9, 0, v9
	s_and_b32 s9, s9, exec_lo
	s_delay_alu instid0(SALU_CYCLE_1)
	s_or_b32 s28, s24, s9
	s_mov_b32 s24, 0
	v_mov_b32_e32 v116, 1
	s_and_saveexec_b32 s29, s28
	s_cbranch_execz .LBB10_126
.LBB10_132:                             ;   in Loop: Header=BB10_128 Depth=2
	s_wait_loadcnt_dscnt 0x0
	v_add_nc_u64_e32 v[96:97], 8, v[52:53]
	v_mov_b32_e32 v116, 0
	s_or_b32 s27, s27, exec_lo
	s_delay_alu instid0(VALU_DEP_2)
	v_cmp_ge_u64_e64 s9, v[96:97], v[10:11]
	s_or_not1_b32 s26, s9, exec_lo
	s_branch .LBB10_126
.LBB10_133:                             ;   in Loop: Header=BB10_70 Depth=1
	s_or_b32 exec_lo, exec_lo, s17
                                        ; implicit-def: $vgpr1
	s_and_not1_saveexec_b32 s16, s16
	s_cbranch_execz .LBB10_69
	s_branch .LBB10_122
.LBB10_134:                             ;   in Loop: Header=BB10_70 Depth=1
	v_and_b32_e32 v1, 7, v22
	v_and_b32_e32 v13, 7, v26
	v_add_nc_u64_e32 v[98:99], v[70:71], v[10:11]
	v_add_nc_u32_e32 v117, 1, v22
	s_mov_b32 s19, 0
	v_mul_lo_u32 v12, v1, s14
	v_mul_lo_u32 v96, v13, s14
	s_delay_alu instid0(VALU_DEP_2) | instskip(NEXT) | instid1(VALU_DEP_2)
	v_dual_add_nc_u32 v1, 1, v26 :: v_dual_ashrrev_i32 v13, 31, v12
	v_ashrrev_i32_e32 v97, 31, v96
	s_delay_alu instid0(VALU_DEP_2) | instskip(NEXT) | instid1(VALU_DEP_2)
	v_lshl_add_u64 v[100:101], v[12:13], 4, v[20:21]
	v_lshl_add_u64 v[102:103], v[96:97], 4, v[24:25]
	v_mov_b32_e32 v96, v0
	s_branch .LBB10_136
.LBB10_135:                             ;   in Loop: Header=BB10_136 Depth=2
	v_sub_nc_u32_e32 v48, v48, v68
	s_wait_xcnt 0x0
	v_add_nc_u64_e32 v[98:99], v[98:99], v[68:69]
	v_add_nc_u32_e32 v96, v96, v2
	s_delay_alu instid0(VALU_DEP_3) | instskip(SKIP_1) | instid1(SALU_CYCLE_1)
	v_cmp_gt_i32_e32 vcc_lo, 1, v48
	s_or_b32 s19, vcc_lo, s19
	s_and_not1_b32 exec_lo, exec_lo, s19
	s_cbranch_execz .LBB10_198
.LBB10_136:                             ;   Parent Loop BB10_70 Depth=1
                                        ; =>  This Loop Header: Depth=2
                                        ;       Child Loop BB10_140 Depth 3
	s_delay_alu instid0(VALU_DEP_1) | instskip(SKIP_2) | instid1(VALU_DEP_3)
	v_ashrrev_i32_e32 v97, 31, v96
	v_cmp_eq_u32_e32 vcc_lo, 0, v116
	v_mov_b32_e32 v116, 1
	v_lshl_add_u64 v[112:113], v[96:97], 4, v[100:101]
	global_load_b128 v[10:13], v[112:113], off th:TH_LOAD_NT
	s_wait_xcnt 0x0
	s_and_saveexec_b32 s20, vcc_lo
	s_cbranch_execz .LBB10_148
; %bb.137:                              ;   in Loop: Header=BB10_136 Depth=2
	s_wait_loadcnt 0x0
	v_cmp_ne_u32_e32 vcc_lo, v117, v11
	v_cmp_ne_u32_e64 s9, v117, v13
	v_mov_b32_e32 v116, 0
	s_or_b32 s9, vcc_lo, s9
	s_delay_alu instid0(SALU_CYCLE_1)
	s_and_saveexec_b32 s21, s9
	s_cbranch_execz .LBB10_147
; %bb.138:                              ;   in Loop: Header=BB10_136 Depth=2
	s_mov_b32 s25, 1
	s_mov_b32 s23, 0
                                        ; implicit-def: $sgpr22
                                        ; implicit-def: $sgpr24
	s_branch .LBB10_140
.LBB10_139:                             ;   in Loop: Header=BB10_140 Depth=3
	s_or_b32 exec_lo, exec_lo, s27
	s_delay_alu instid0(SALU_CYCLE_1) | instskip(NEXT) | instid1(SALU_CYCLE_1)
	s_and_b32 s9, exec_lo, s9
	s_or_b32 s23, s9, s23
	s_and_not1_b32 s9, s22, exec_lo
	s_and_b32 s22, s24, exec_lo
	s_delay_alu instid0(SALU_CYCLE_1)
	s_or_b32 s22, s9, s22
	s_and_not1_b32 exec_lo, exec_lo, s23
	s_cbranch_execz .LBB10_144
.LBB10_140:                             ;   Parent Loop BB10_70 Depth=1
                                        ;     Parent Loop BB10_136 Depth=2
                                        ; =>    This Inner Loop Header: Depth=3
	s_wait_loadcnt 0x0
	global_load_b128 v[10:13], v[112:113], off th:TH_LOAD_NT
	s_add_co_i32 s25, s25, 1
	s_mov_b32 s9, -1
	s_cmp_lg_u32 s25, 0x2710
	s_mov_b32 s26, -1
                                        ; implicit-def: $vgpr118
	s_cbranch_scc0 .LBB10_142
; %bb.141:                              ;   in Loop: Header=BB10_140 Depth=3
	s_or_b32 s24, s24, exec_lo
	s_wait_xcnt 0x0
	s_and_saveexec_b32 s27, s26
	s_cbranch_execz .LBB10_139
	s_branch .LBB10_143
.LBB10_142:                             ;   in Loop: Header=BB10_140 Depth=3
	s_trap 2
	ds_load_b64 v[118:119], v0
	s_mov_b32 s25, 0
	s_wait_storecnt 0x0
	s_wait_loadcnt_dscnt 0x0
	flat_load_b32 v118, v[118:119] scope:SCOPE_SYS
	s_wait_loadcnt_dscnt 0x0
	global_inv scope:SCOPE_SYS
	v_cmp_eq_u32_e32 vcc_lo, 0, v118
	s_or_not1_b32 s26, vcc_lo, exec_lo
	s_or_b32 s24, s24, exec_lo
	s_and_saveexec_b32 s27, s26
	s_cbranch_execz .LBB10_139
.LBB10_143:                             ;   in Loop: Header=BB10_140 Depth=3
	s_wait_loadcnt 0x0
	v_cmp_eq_u32_e32 vcc_lo, v117, v11
	v_cmp_eq_u32_e64 s9, v117, v13
	s_and_not1_b32 s24, s24, exec_lo
	s_and_b32 s9, vcc_lo, s9
	s_delay_alu instid0(SALU_CYCLE_1)
	s_or_not1_b32 s9, s9, exec_lo
	s_branch .LBB10_139
.LBB10_144:                             ;   in Loop: Header=BB10_136 Depth=2
	s_or_b32 exec_lo, exec_lo, s23
	v_mov_b32_e32 v116, 0
	s_and_saveexec_b32 s9, s22
	s_delay_alu instid0(SALU_CYCLE_1)
	s_xor_b32 s9, exec_lo, s9
	s_cbranch_execz .LBB10_146
; %bb.145:                              ;   in Loop: Header=BB10_136 Depth=2
	v_mov_b32_e32 v116, 1
	s_wait_storecnt 0x0
	s_wait_loadcnt_dscnt 0x0
	ds_store_b32 v0, v118
	s_trap 2
.LBB10_146:                             ;   in Loop: Header=BB10_136 Depth=2
	s_or_b32 exec_lo, exec_lo, s9
.LBB10_147:                             ;   in Loop: Header=BB10_136 Depth=2
	s_delay_alu instid0(SALU_CYCLE_1)
	s_or_b32 exec_lo, exec_lo, s21
.LBB10_148:                             ;   in Loop: Header=BB10_136 Depth=2
	s_delay_alu instid0(SALU_CYCLE_1)
	s_or_b32 exec_lo, exec_lo, s20
	v_cmp_lt_u32_e32 vcc_lo, 7, v48
	v_lshl_add_u64 v[112:113], v[96:97], 4, v[102:103]
	s_wait_loadcnt 0x0
	v_dual_mov_b32 v11, v1 :: v_dual_mov_b32 v13, v1
	s_mov_b32 s9, -1
	s_cmp_lg_u32 vcc_lo, exec_lo
	global_store_b128 v[112:113], v[10:13], off
	s_cbranch_scc0 .LBB10_164
; %bb.149:                              ;   in Loop: Header=BB10_136 Depth=2
	s_mov_b32 s20, exec_lo
	flat_store_b8 v[98:99], v10
	s_wait_xcnt 0x0
	v_cmpx_ne_u32_e32 1, v48
	s_cbranch_execz .LBB10_151
; %bb.150:                              ;   in Loop: Header=BB10_136 Depth=2
	v_lshrrev_b32_e32 v11, 8, v10
	flat_store_b8 v[98:99], v11 offset:1
.LBB10_151:                             ;   in Loop: Header=BB10_136 Depth=2
	s_wait_xcnt 0x0
	s_or_b32 exec_lo, exec_lo, s20
	s_delay_alu instid0(SALU_CYCLE_1)
	s_mov_b32 s20, exec_lo
	v_cmpx_lt_u32_e32 2, v48
	s_cbranch_execz .LBB10_153
; %bb.152:                              ;   in Loop: Header=BB10_136 Depth=2
	flat_store_d16_hi_b8 v[98:99], v10 offset:2
.LBB10_153:                             ;   in Loop: Header=BB10_136 Depth=2
	s_wait_xcnt 0x0
	s_or_b32 exec_lo, exec_lo, s20
	s_delay_alu instid0(SALU_CYCLE_1)
	s_mov_b32 s20, exec_lo
	v_cmpx_lt_u32_e32 3, v48
	s_cbranch_execz .LBB10_155
; %bb.154:                              ;   in Loop: Header=BB10_136 Depth=2
	v_lshrrev_b32_e32 v11, 24, v10
	flat_store_b8 v[98:99], v11 offset:3
.LBB10_155:                             ;   in Loop: Header=BB10_136 Depth=2
	s_wait_xcnt 0x0
	s_or_b32 exec_lo, exec_lo, s20
	s_delay_alu instid0(SALU_CYCLE_1)
	s_mov_b32 s20, exec_lo
	v_cmpx_lt_u32_e32 4, v48
	s_cbranch_execz .LBB10_157
; %bb.156:                              ;   in Loop: Header=BB10_136 Depth=2
	flat_store_b8 v[98:99], v12 offset:4
.LBB10_157:                             ;   in Loop: Header=BB10_136 Depth=2
	s_wait_xcnt 0x0
	s_or_b32 exec_lo, exec_lo, s20
	s_delay_alu instid0(SALU_CYCLE_1)
	s_mov_b32 s20, exec_lo
	v_cmpx_lt_u32_e32 5, v48
	s_cbranch_execz .LBB10_159
; %bb.158:                              ;   in Loop: Header=BB10_136 Depth=2
	v_lshrrev_b32_e32 v11, 8, v12
	flat_store_b8 v[98:99], v11 offset:5
.LBB10_159:                             ;   in Loop: Header=BB10_136 Depth=2
	s_wait_xcnt 0x0
	s_or_b32 exec_lo, exec_lo, s20
	s_delay_alu instid0(SALU_CYCLE_1)
	s_mov_b32 s20, exec_lo
	v_cmpx_lt_u32_e32 6, v48
	s_cbranch_execz .LBB10_161
; %bb.160:                              ;   in Loop: Header=BB10_136 Depth=2
	flat_store_d16_hi_b8 v[98:99], v12 offset:6
.LBB10_161:                             ;   in Loop: Header=BB10_136 Depth=2
	s_wait_xcnt 0x0
	s_or_b32 exec_lo, exec_lo, s20
	s_and_saveexec_b32 s9, vcc_lo
	s_cbranch_execz .LBB10_163
; %bb.162:                              ;   in Loop: Header=BB10_136 Depth=2
	v_lshrrev_b32_e32 v11, 24, v12
	flat_store_b8 v[98:99], v11 offset:7
.LBB10_163:                             ;   in Loop: Header=BB10_136 Depth=2
	s_wait_xcnt 0x0
	s_or_b32 exec_lo, exec_lo, s9
	s_mov_b32 s9, 0
.LBB10_164:                             ;   in Loop: Header=BB10_136 Depth=2
	s_delay_alu instid0(SALU_CYCLE_1)
	s_and_b32 vcc_lo, exec_lo, s9
	s_cbranch_vccz .LBB10_135
; %bb.165:                              ;   in Loop: Header=BB10_136 Depth=2
	s_wait_xcnt 0x0
	v_mov_b32_e32 v11, v12
	global_store_b64 v[98:99], v[10:11], off
	s_branch .LBB10_135
.LBB10_166:                             ;   in Loop: Header=BB10_70 Depth=1
	v_dual_add_nc_u32 v48, 1, v22 :: v_dual_bitop2_b32 v12, 7, v22 bitop3:0x40
	v_add_nc_u64_e32 v[96:97], v[70:71], v[10:11]
	s_mov_b32 s19, 0
	v_mov_b32_e32 v100, v0
	s_delay_alu instid0(VALU_DEP_3) | instskip(NEXT) | instid1(VALU_DEP_1)
	v_mul_lo_u32 v12, v12, s14
	v_ashrrev_i32_e32 v13, 31, v12
	s_delay_alu instid0(VALU_DEP_1)
	v_lshl_add_u64 v[98:99], v[12:13], 4, v[20:21]
	s_branch .LBB10_168
.LBB10_167:                             ;   in Loop: Header=BB10_168 Depth=2
	v_dual_sub_nc_u32 v1, v1, v68 :: v_dual_add_nc_u32 v100, v100, v2
	s_wait_xcnt 0x0
	v_add_nc_u64_e32 v[96:97], v[96:97], v[68:69]
	s_delay_alu instid0(VALU_DEP_2) | instskip(SKIP_1) | instid1(SALU_CYCLE_1)
	v_cmp_gt_i32_e32 vcc_lo, 1, v1
	s_or_b32 s19, vcc_lo, s19
	s_and_not1_b32 exec_lo, exec_lo, s19
	s_cbranch_execz .LBB10_210
.LBB10_168:                             ;   Parent Loop BB10_70 Depth=1
                                        ; =>  This Loop Header: Depth=2
                                        ;       Child Loop BB10_172 Depth 3
	v_ashrrev_i32_e32 v101, 31, v100
	v_cmp_eq_u32_e32 vcc_lo, 0, v116
	v_mov_b32_e32 v116, 1
	s_delay_alu instid0(VALU_DEP_3)
	v_lshl_add_u64 v[102:103], v[100:101], 4, v[98:99]
	s_wait_loadcnt 0x0
	global_load_b128 v[10:13], v[102:103], off th:TH_LOAD_NT
	s_wait_xcnt 0x0
	s_and_saveexec_b32 s20, vcc_lo
	s_cbranch_execz .LBB10_180
; %bb.169:                              ;   in Loop: Header=BB10_168 Depth=2
	s_wait_loadcnt 0x0
	v_cmp_ne_u32_e32 vcc_lo, v48, v11
	v_cmp_ne_u32_e64 s9, v48, v13
	v_mov_b32_e32 v116, 0
	s_or_b32 s9, vcc_lo, s9
	s_delay_alu instid0(SALU_CYCLE_1)
	s_and_saveexec_b32 s21, s9
	s_cbranch_execz .LBB10_179
; %bb.170:                              ;   in Loop: Header=BB10_168 Depth=2
	s_mov_b32 s25, 1
	s_mov_b32 s23, 0
                                        ; implicit-def: $sgpr22
                                        ; implicit-def: $sgpr24
	s_branch .LBB10_172
.LBB10_171:                             ;   in Loop: Header=BB10_172 Depth=3
	s_or_b32 exec_lo, exec_lo, s27
	s_delay_alu instid0(SALU_CYCLE_1) | instskip(NEXT) | instid1(SALU_CYCLE_1)
	s_and_b32 s9, exec_lo, s9
	s_or_b32 s23, s9, s23
	s_and_not1_b32 s9, s22, exec_lo
	s_and_b32 s22, s24, exec_lo
	s_delay_alu instid0(SALU_CYCLE_1)
	s_or_b32 s22, s9, s22
	s_and_not1_b32 exec_lo, exec_lo, s23
	s_cbranch_execz .LBB10_176
.LBB10_172:                             ;   Parent Loop BB10_70 Depth=1
                                        ;     Parent Loop BB10_168 Depth=2
                                        ; =>    This Inner Loop Header: Depth=3
	s_wait_loadcnt 0x0
	global_load_b128 v[10:13], v[102:103], off th:TH_LOAD_NT
	s_add_co_i32 s25, s25, 1
	s_mov_b32 s9, -1
	s_cmp_lg_u32 s25, 0x2710
	s_mov_b32 s26, -1
                                        ; implicit-def: $vgpr101
	s_cbranch_scc0 .LBB10_174
; %bb.173:                              ;   in Loop: Header=BB10_172 Depth=3
	s_or_b32 s24, s24, exec_lo
	s_wait_xcnt 0x0
	s_and_saveexec_b32 s27, s26
	s_cbranch_execz .LBB10_171
	s_branch .LBB10_175
.LBB10_174:                             ;   in Loop: Header=BB10_172 Depth=3
	s_trap 2
	ds_load_b64 v[112:113], v0
	s_mov_b32 s25, 0
	s_wait_storecnt 0x0
	s_wait_loadcnt_dscnt 0x0
	flat_load_b32 v101, v[112:113] scope:SCOPE_SYS
	s_wait_loadcnt_dscnt 0x0
	global_inv scope:SCOPE_SYS
	v_cmp_eq_u32_e32 vcc_lo, 0, v101
	s_or_not1_b32 s26, vcc_lo, exec_lo
	s_or_b32 s24, s24, exec_lo
	s_and_saveexec_b32 s27, s26
	s_cbranch_execz .LBB10_171
.LBB10_175:                             ;   in Loop: Header=BB10_172 Depth=3
	s_wait_loadcnt 0x0
	v_cmp_eq_u32_e32 vcc_lo, v48, v11
	v_cmp_eq_u32_e64 s9, v48, v13
	s_and_not1_b32 s24, s24, exec_lo
	s_and_b32 s9, vcc_lo, s9
	s_delay_alu instid0(SALU_CYCLE_1)
	s_or_not1_b32 s9, s9, exec_lo
	s_branch .LBB10_171
.LBB10_176:                             ;   in Loop: Header=BB10_168 Depth=2
	s_or_b32 exec_lo, exec_lo, s23
	v_mov_b32_e32 v116, 0
	s_and_saveexec_b32 s9, s22
	s_delay_alu instid0(SALU_CYCLE_1)
	s_xor_b32 s9, exec_lo, s9
	s_cbranch_execz .LBB10_178
; %bb.177:                              ;   in Loop: Header=BB10_168 Depth=2
	v_mov_b32_e32 v116, 1
	s_wait_storecnt 0x0
	s_wait_loadcnt_dscnt 0x0
	ds_store_b32 v0, v101
	s_trap 2
.LBB10_178:                             ;   in Loop: Header=BB10_168 Depth=2
	s_or_b32 exec_lo, exec_lo, s9
.LBB10_179:                             ;   in Loop: Header=BB10_168 Depth=2
	s_delay_alu instid0(SALU_CYCLE_1)
	s_or_b32 exec_lo, exec_lo, s21
.LBB10_180:                             ;   in Loop: Header=BB10_168 Depth=2
	s_delay_alu instid0(SALU_CYCLE_1)
	s_or_b32 exec_lo, exec_lo, s20
	v_cmp_lt_u32_e32 vcc_lo, 7, v1
	s_mov_b32 s9, -1
	s_cmp_lg_u32 vcc_lo, exec_lo
	s_cbranch_scc0 .LBB10_196
; %bb.181:                              ;   in Loop: Header=BB10_168 Depth=2
	s_mov_b32 s20, exec_lo
	s_wait_loadcnt 0x0
	flat_store_b8 v[96:97], v10
	s_wait_xcnt 0x0
	v_cmpx_ne_u32_e32 1, v1
	s_cbranch_execz .LBB10_183
; %bb.182:                              ;   in Loop: Header=BB10_168 Depth=2
	v_lshrrev_b32_e32 v11, 8, v10
	flat_store_b8 v[96:97], v11 offset:1
.LBB10_183:                             ;   in Loop: Header=BB10_168 Depth=2
	s_wait_xcnt 0x0
	s_or_b32 exec_lo, exec_lo, s20
	s_delay_alu instid0(SALU_CYCLE_1)
	s_mov_b32 s20, exec_lo
	v_cmpx_lt_u32_e32 2, v1
	s_cbranch_execz .LBB10_185
; %bb.184:                              ;   in Loop: Header=BB10_168 Depth=2
	flat_store_d16_hi_b8 v[96:97], v10 offset:2
.LBB10_185:                             ;   in Loop: Header=BB10_168 Depth=2
	s_wait_xcnt 0x0
	s_or_b32 exec_lo, exec_lo, s20
	s_delay_alu instid0(SALU_CYCLE_1)
	s_mov_b32 s20, exec_lo
	v_cmpx_lt_u32_e32 3, v1
	s_cbranch_execz .LBB10_187
; %bb.186:                              ;   in Loop: Header=BB10_168 Depth=2
	v_lshrrev_b32_e32 v11, 24, v10
	flat_store_b8 v[96:97], v11 offset:3
.LBB10_187:                             ;   in Loop: Header=BB10_168 Depth=2
	s_wait_xcnt 0x0
	s_or_b32 exec_lo, exec_lo, s20
	s_delay_alu instid0(SALU_CYCLE_1)
	s_mov_b32 s20, exec_lo
	v_cmpx_lt_u32_e32 4, v1
	s_cbranch_execz .LBB10_189
; %bb.188:                              ;   in Loop: Header=BB10_168 Depth=2
	flat_store_b8 v[96:97], v12 offset:4
.LBB10_189:                             ;   in Loop: Header=BB10_168 Depth=2
	s_wait_xcnt 0x0
	s_or_b32 exec_lo, exec_lo, s20
	s_delay_alu instid0(SALU_CYCLE_1)
	s_mov_b32 s20, exec_lo
	v_cmpx_lt_u32_e32 5, v1
	s_cbranch_execz .LBB10_191
; %bb.190:                              ;   in Loop: Header=BB10_168 Depth=2
	v_lshrrev_b32_e32 v11, 8, v12
	flat_store_b8 v[96:97], v11 offset:5
.LBB10_191:                             ;   in Loop: Header=BB10_168 Depth=2
	s_wait_xcnt 0x0
	s_or_b32 exec_lo, exec_lo, s20
	s_delay_alu instid0(SALU_CYCLE_1)
	s_mov_b32 s20, exec_lo
	v_cmpx_lt_u32_e32 6, v1
	s_cbranch_execz .LBB10_193
; %bb.192:                              ;   in Loop: Header=BB10_168 Depth=2
	flat_store_d16_hi_b8 v[96:97], v12 offset:6
.LBB10_193:                             ;   in Loop: Header=BB10_168 Depth=2
	s_wait_xcnt 0x0
	s_or_b32 exec_lo, exec_lo, s20
	s_and_saveexec_b32 s9, vcc_lo
	s_cbranch_execz .LBB10_195
; %bb.194:                              ;   in Loop: Header=BB10_168 Depth=2
	v_lshrrev_b32_e32 v11, 24, v12
	flat_store_b8 v[96:97], v11 offset:7
.LBB10_195:                             ;   in Loop: Header=BB10_168 Depth=2
	s_wait_xcnt 0x0
	s_or_b32 exec_lo, exec_lo, s9
	s_mov_b32 s9, 0
.LBB10_196:                             ;   in Loop: Header=BB10_168 Depth=2
	s_delay_alu instid0(SALU_CYCLE_1)
	s_and_b32 vcc_lo, exec_lo, s9
	s_cbranch_vccz .LBB10_167
; %bb.197:                              ;   in Loop: Header=BB10_168 Depth=2
	s_wait_loadcnt 0x0
	v_mov_b32_e32 v11, v12
	global_store_b64 v[96:97], v[10:11], off
	s_branch .LBB10_167
.LBB10_198:                             ;   in Loop: Header=BB10_70 Depth=1
	s_or_b32 exec_lo, exec_lo, s19
	s_delay_alu instid0(SALU_CYCLE_1)
	s_or_b32 exec_lo, exec_lo, s18
	s_and_saveexec_b32 s9, s5
	s_cbranch_execz .LBB10_109
.LBB10_199:                             ;   in Loop: Header=BB10_70 Depth=1
	s_and_saveexec_b32 s18, s6
	s_delay_alu instid0(SALU_CYCLE_1)
	s_xor_b32 s18, exec_lo, s18
	s_cbranch_execz .LBB10_244
; %bb.200:                              ;   in Loop: Header=BB10_70 Depth=1
	s_and_saveexec_b32 s19, s7
	s_cbranch_execz .LBB10_243
; %bb.201:                              ;   in Loop: Header=BB10_70 Depth=1
	s_mov_b32 s21, exec_lo
	s_mov_b32 s20, exec_lo
	v_mbcnt_lo_u32_b32 v1, s21, 0
	global_wb scope:SCOPE_DEV
	s_wait_storecnt 0x0
	s_wait_loadcnt_dscnt 0x0
	global_inv scope:SCOPE_DEV
	v_cmpx_eq_u32_e32 0, v1
	s_cbranch_execz .LBB10_203
; %bb.202:                              ;   in Loop: Header=BB10_70 Depth=1
	s_bcnt1_i32_b32 s21, s21
	s_delay_alu instid0(SALU_CYCLE_1)
	v_mov_b32_e32 v48, s21
	s_wait_loadcnt 0x0
	ds_add_u64 v0, v[48:49]
	s_trap 2
.LBB10_203:                             ;   in Loop: Header=BB10_70 Depth=1
	s_or_b32 exec_lo, exec_lo, s20
	s_trap 2
	ds_load_b64 v[10:11], v0
	s_wait_dscnt 0x0
	v_add_nc_u64_e32 v[36:37], v[36:37], v[66:67]
	s_mov_b32 s20, exec_lo
	s_delay_alu instid0(VALU_DEP_1)
	v_cmpx_lt_u64_e64 v[10:11], v[36:37]
	s_cbranch_execz .LBB10_242
; %bb.204:                              ;   in Loop: Header=BB10_70 Depth=1
	s_mov_b32 s21, 0
	s_mov_b32 s24, 0
                                        ; implicit-def: $sgpr22
                                        ; implicit-def: $sgpr23
	s_branch .LBB10_206
.LBB10_205:                             ;   in Loop: Header=BB10_206 Depth=2
	s_or_b32 exec_lo, exec_lo, s26
	s_delay_alu instid0(SALU_CYCLE_1) | instskip(NEXT) | instid1(SALU_CYCLE_1)
	s_and_b32 s25, exec_lo, s27
	s_or_b32 s21, s25, s21
	s_and_not1_b32 s22, s22, exec_lo
	s_and_b32 s25, s23, exec_lo
	s_delay_alu instid0(SALU_CYCLE_1)
	s_or_b32 s22, s22, s25
	s_and_not1_b32 exec_lo, exec_lo, s21
	s_cbranch_execz .LBB10_240
.LBB10_206:                             ;   Parent Loop BB10_70 Depth=1
                                        ; =>  This Inner Loop Header: Depth=2
	s_add_co_i32 s24, s24, 1
	s_delay_alu instid0(SALU_CYCLE_1) | instskip(SKIP_1) | instid1(SALU_CYCLE_1)
	s_cmp_lg_u32 s24, 0x2710
	s_cselect_b32 s25, -1, 0
	s_and_b32 vcc_lo, exec_lo, s25
	s_cbranch_vccz .LBB10_208
; %bb.207:                              ;   in Loop: Header=BB10_206 Depth=2
	s_mov_b32 s27, -1
	s_or_b32 s23, s23, exec_lo
	s_and_saveexec_b32 s26, s25
	s_cbranch_execz .LBB10_205
	s_branch .LBB10_209
.LBB10_208:                             ;   in Loop: Header=BB10_206 Depth=2
	s_trap 2
	ds_load_b64 v[10:11], v0
	s_and_not1_b32 s25, s25, exec_lo
	s_mov_b32 s24, 0
	s_wait_loadcnt_dscnt 0x0
	flat_load_b32 v1, v[10:11] scope:SCOPE_SYS
	s_wait_loadcnt_dscnt 0x0
	global_inv scope:SCOPE_SYS
	v_cmp_eq_u32_e32 vcc_lo, 0, v1
	s_and_b32 s26, vcc_lo, exec_lo
	s_delay_alu instid0(SALU_CYCLE_1)
	s_or_b32 s25, s25, s26
	s_mov_b32 s27, -1
	s_or_b32 s23, s23, exec_lo
	s_and_saveexec_b32 s26, s25
	s_cbranch_execz .LBB10_205
.LBB10_209:                             ;   in Loop: Header=BB10_206 Depth=2
	s_sleep 1
	s_trap 2
	ds_load_b64 v[10:11], v0
	s_wait_dscnt 0x0
	s_and_not1_b32 s23, s23, exec_lo
	v_cmp_ge_u64_e32 vcc_lo, v[10:11], v[36:37]
	s_or_not1_b32 s27, vcc_lo, exec_lo
	s_branch .LBB10_205
.LBB10_210:                             ;   in Loop: Header=BB10_70 Depth=1
	s_or_b32 exec_lo, exec_lo, s19
	s_delay_alu instid0(SALU_CYCLE_1)
	s_or_b32 exec_lo, exec_lo, s18
	s_and_saveexec_b32 s9, s5
	s_cbranch_execz .LBB10_118
.LBB10_211:                             ;   in Loop: Header=BB10_70 Depth=1
	s_and_saveexec_b32 s18, s6
	s_delay_alu instid0(SALU_CYCLE_1)
	s_xor_b32 s18, exec_lo, s18
	s_cbranch_execz .LBB10_251
; %bb.212:                              ;   in Loop: Header=BB10_70 Depth=1
	s_and_saveexec_b32 s19, s7
	s_cbranch_execz .LBB10_250
; %bb.213:                              ;   in Loop: Header=BB10_70 Depth=1
	s_mov_b32 s21, exec_lo
	s_mov_b32 s20, exec_lo
	v_mbcnt_lo_u32_b32 v1, s21, 0
	global_wb scope:SCOPE_DEV
	s_wait_storecnt 0x0
	s_wait_loadcnt_dscnt 0x0
	global_inv scope:SCOPE_DEV
	v_cmpx_eq_u32_e32 0, v1
	s_cbranch_execz .LBB10_215
; %bb.214:                              ;   in Loop: Header=BB10_70 Depth=1
	s_bcnt1_i32_b32 s21, s21
	s_delay_alu instid0(SALU_CYCLE_1)
	v_mov_b32_e32 v48, s21
	s_wait_loadcnt 0x0
	ds_add_u64 v0, v[48:49]
	s_trap 2
.LBB10_215:                             ;   in Loop: Header=BB10_70 Depth=1
	s_or_b32 exec_lo, exec_lo, s20
	s_trap 2
	ds_load_b64 v[10:11], v0
	s_wait_dscnt 0x0
	v_add_nc_u64_e32 v[36:37], v[36:37], v[66:67]
	s_mov_b32 s20, exec_lo
	s_delay_alu instid0(VALU_DEP_1)
	v_cmpx_lt_u64_e64 v[10:11], v[36:37]
	s_cbranch_execz .LBB10_249
; %bb.216:                              ;   in Loop: Header=BB10_70 Depth=1
	s_mov_b32 s21, 0
	s_mov_b32 s24, 0
                                        ; implicit-def: $sgpr22
                                        ; implicit-def: $sgpr23
	s_branch .LBB10_218
.LBB10_217:                             ;   in Loop: Header=BB10_218 Depth=2
	s_or_b32 exec_lo, exec_lo, s26
	s_delay_alu instid0(SALU_CYCLE_1) | instskip(NEXT) | instid1(SALU_CYCLE_1)
	s_and_b32 s25, exec_lo, s27
	s_or_b32 s21, s25, s21
	s_and_not1_b32 s22, s22, exec_lo
	s_and_b32 s25, s23, exec_lo
	s_delay_alu instid0(SALU_CYCLE_1)
	s_or_b32 s22, s22, s25
	s_and_not1_b32 exec_lo, exec_lo, s21
	s_cbranch_execz .LBB10_247
.LBB10_218:                             ;   Parent Loop BB10_70 Depth=1
                                        ; =>  This Inner Loop Header: Depth=2
	s_add_co_i32 s24, s24, 1
	s_delay_alu instid0(SALU_CYCLE_1) | instskip(SKIP_1) | instid1(SALU_CYCLE_1)
	s_cmp_lg_u32 s24, 0x2710
	s_cselect_b32 s25, -1, 0
	s_and_b32 vcc_lo, exec_lo, s25
	s_cbranch_vccz .LBB10_220
; %bb.219:                              ;   in Loop: Header=BB10_218 Depth=2
	s_mov_b32 s27, -1
	s_or_b32 s23, s23, exec_lo
	s_and_saveexec_b32 s26, s25
	s_cbranch_execz .LBB10_217
	s_branch .LBB10_221
.LBB10_220:                             ;   in Loop: Header=BB10_218 Depth=2
	s_trap 2
	ds_load_b64 v[10:11], v0
	s_and_not1_b32 s25, s25, exec_lo
	s_mov_b32 s24, 0
	s_wait_loadcnt_dscnt 0x0
	flat_load_b32 v1, v[10:11] scope:SCOPE_SYS
	s_wait_loadcnt_dscnt 0x0
	global_inv scope:SCOPE_SYS
	v_cmp_eq_u32_e32 vcc_lo, 0, v1
	s_and_b32 s26, vcc_lo, exec_lo
	s_delay_alu instid0(SALU_CYCLE_1)
	s_or_b32 s25, s25, s26
	s_mov_b32 s27, -1
	s_or_b32 s23, s23, exec_lo
	s_and_saveexec_b32 s26, s25
	s_cbranch_execz .LBB10_217
.LBB10_221:                             ;   in Loop: Header=BB10_218 Depth=2
	s_sleep 1
	s_trap 2
	ds_load_b64 v[10:11], v0
	s_wait_dscnt 0x0
	s_and_not1_b32 s23, s23, exec_lo
	v_cmp_ge_u64_e32 vcc_lo, v[10:11], v[36:37]
	s_or_not1_b32 s27, vcc_lo, exec_lo
	s_branch .LBB10_217
.LBB10_222:                             ;   in Loop: Header=BB10_70 Depth=1
	s_or_b32 exec_lo, exec_lo, s20
	s_xor_b32 s9, s21, -1
	s_delay_alu instid0(SALU_CYCLE_1) | instskip(NEXT) | instid1(SALU_CYCLE_1)
	s_and_saveexec_b32 s20, s9
	s_xor_b32 s9, exec_lo, s20
	s_cbranch_execz .LBB10_224
; %bb.223:                              ;   in Loop: Header=BB10_70 Depth=1
	v_mov_b32_e32 v116, 1
	s_wait_storecnt 0x0
	s_wait_loadcnt_dscnt 0x0
	ds_store_b32 v0, v9
	s_trap 2
.LBB10_224:                             ;   in Loop: Header=BB10_70 Depth=1
	s_or_b32 exec_lo, exec_lo, s9
.LBB10_225:                             ;   in Loop: Header=BB10_70 Depth=1
	s_delay_alu instid0(SALU_CYCLE_1)
	s_or_b32 exec_lo, exec_lo, s19
	s_and_saveexec_b32 s9, s4
	s_cbranch_execz .LBB10_227
; %bb.226:                              ;   in Loop: Header=BB10_70 Depth=1
	v_and_b32_e32 v48, 0x7ffffff8, v8
	v_and_b32_e32 v8, 7, v8
	s_delay_alu instid0(VALU_DEP_2) | instskip(NEXT) | instid1(VALU_DEP_2)
	v_cmp_eq_u64_e32 vcc_lo, 0x7ffffff8, v[48:49]
	v_mad_nc_u64_u32 v[8:9], v8, 24, v[6:7]
	v_cndmask_b32_e64 v12, v12, s14, vcc_lo
	s_delay_alu instid0(VALU_DEP_1) | instskip(NEXT) | instid1(VALU_DEP_1)
	v_lshlrev_b32_e32 v12, 4, v12
	v_ashrrev_i32_e32 v13, 31, v12
	flat_store_b64 v[8:9], v[12:13] offset:8 scope:SCOPE_SYS
	s_wait_storecnt 0x0
.LBB10_227:                             ;   in Loop: Header=BB10_70 Depth=1
	s_wait_xcnt 0x0
	s_or_b32 exec_lo, exec_lo, s9
	v_mov_b64_e32 v[8:9], v[10:11]
.LBB10_228:                             ;   in Loop: Header=BB10_70 Depth=1
	s_or_b32 exec_lo, exec_lo, s18
	s_and_saveexec_b32 s9, s5
	s_cbranch_execz .LBB10_261
; %bb.229:                              ;   in Loop: Header=BB10_70 Depth=1
	s_and_saveexec_b32 s18, s6
	s_delay_alu instid0(SALU_CYCLE_1)
	s_xor_b32 s18, exec_lo, s18
	s_cbranch_execz .LBB10_258
; %bb.230:                              ;   in Loop: Header=BB10_70 Depth=1
	s_and_saveexec_b32 s19, s7
	s_cbranch_execz .LBB10_257
; %bb.231:                              ;   in Loop: Header=BB10_70 Depth=1
	s_mov_b32 s21, exec_lo
	s_mov_b32 s20, exec_lo
	v_mbcnt_lo_u32_b32 v10, s21, 0
	global_wb scope:SCOPE_DEV
	s_wait_storecnt 0x0
	s_wait_loadcnt_dscnt 0x0
	global_inv scope:SCOPE_DEV
	v_cmpx_eq_u32_e32 0, v10
	s_cbranch_execz .LBB10_233
; %bb.232:                              ;   in Loop: Header=BB10_70 Depth=1
	s_bcnt1_i32_b32 s21, s21
	s_delay_alu instid0(SALU_CYCLE_1)
	v_mov_b32_e32 v48, s21
	s_wait_loadcnt 0x0
	ds_add_u64 v0, v[48:49]
	s_trap 2
.LBB10_233:                             ;   in Loop: Header=BB10_70 Depth=1
	s_or_b32 exec_lo, exec_lo, s20
	s_trap 2
	ds_load_b64 v[10:11], v0
	s_wait_dscnt 0x0
	v_add_nc_u64_e32 v[36:37], v[36:37], v[66:67]
	s_mov_b32 s20, exec_lo
	s_delay_alu instid0(VALU_DEP_1)
	v_cmpx_lt_u64_e64 v[10:11], v[36:37]
	s_cbranch_execz .LBB10_256
; %bb.234:                              ;   in Loop: Header=BB10_70 Depth=1
	s_mov_b32 s21, 0
	s_mov_b32 s24, 0
                                        ; implicit-def: $sgpr22
                                        ; implicit-def: $sgpr23
	s_branch .LBB10_236
.LBB10_235:                             ;   in Loop: Header=BB10_236 Depth=2
	s_or_b32 exec_lo, exec_lo, s26
	s_delay_alu instid0(SALU_CYCLE_1) | instskip(NEXT) | instid1(SALU_CYCLE_1)
	s_and_b32 s25, exec_lo, s27
	s_or_b32 s21, s25, s21
	s_and_not1_b32 s22, s22, exec_lo
	s_and_b32 s25, s23, exec_lo
	s_delay_alu instid0(SALU_CYCLE_1)
	s_or_b32 s22, s22, s25
	s_and_not1_b32 exec_lo, exec_lo, s21
	s_cbranch_execz .LBB10_254
.LBB10_236:                             ;   Parent Loop BB10_70 Depth=1
                                        ; =>  This Inner Loop Header: Depth=2
	s_add_co_i32 s24, s24, 1
	s_delay_alu instid0(SALU_CYCLE_1) | instskip(SKIP_1) | instid1(SALU_CYCLE_1)
	s_cmp_lg_u32 s24, 0x2710
	s_cselect_b32 s25, -1, 0
	s_and_b32 vcc_lo, exec_lo, s25
	s_cbranch_vccz .LBB10_238
; %bb.237:                              ;   in Loop: Header=BB10_236 Depth=2
	s_mov_b32 s27, -1
	s_or_b32 s23, s23, exec_lo
	s_and_saveexec_b32 s26, s25
	s_cbranch_execz .LBB10_235
	s_branch .LBB10_239
.LBB10_238:                             ;   in Loop: Header=BB10_236 Depth=2
	s_trap 2
	ds_load_b64 v[10:11], v0
	s_and_not1_b32 s25, s25, exec_lo
	s_mov_b32 s24, 0
	s_wait_loadcnt_dscnt 0x0
	flat_load_b32 v10, v[10:11] scope:SCOPE_SYS
	s_wait_loadcnt_dscnt 0x0
	global_inv scope:SCOPE_SYS
	v_cmp_eq_u32_e32 vcc_lo, 0, v10
	s_and_b32 s26, vcc_lo, exec_lo
	s_delay_alu instid0(SALU_CYCLE_1)
	s_or_b32 s25, s25, s26
	s_mov_b32 s27, -1
	s_or_b32 s23, s23, exec_lo
	s_and_saveexec_b32 s26, s25
	s_cbranch_execz .LBB10_235
.LBB10_239:                             ;   in Loop: Header=BB10_236 Depth=2
	s_sleep 1
	s_trap 2
	ds_load_b64 v[10:11], v0
	s_wait_dscnt 0x0
	s_and_not1_b32 s23, s23, exec_lo
	v_cmp_ge_u64_e32 vcc_lo, v[10:11], v[36:37]
	s_or_not1_b32 s27, vcc_lo, exec_lo
	s_branch .LBB10_235
.LBB10_240:                             ;   in Loop: Header=BB10_70 Depth=1
	s_or_b32 exec_lo, exec_lo, s21
	s_and_saveexec_b32 s21, s22
	s_delay_alu instid0(SALU_CYCLE_1)
	s_xor_b32 s21, exec_lo, s21
	s_cbranch_execz .LBB10_242
; %bb.241:                              ;   in Loop: Header=BB10_70 Depth=1
	ds_store_b32 v0, v115
	s_trap 2
.LBB10_242:                             ;   in Loop: Header=BB10_70 Depth=1
	s_or_b32 exec_lo, exec_lo, s20
	;;#ASMSTART
	s_wakeup
	;;#ASMEND
.LBB10_243:                             ;   in Loop: Header=BB10_70 Depth=1
	s_or_b32 exec_lo, exec_lo, s19
.LBB10_244:                             ;   in Loop: Header=BB10_70 Depth=1
	s_and_not1_saveexec_b32 s18, s18
	s_cbranch_execz .LBB10_246
; %bb.245:                              ;   in Loop: Header=BB10_70 Depth=1
	global_wb scope:SCOPE_DEV
	s_wait_storecnt 0x0
	s_wait_loadcnt_dscnt 0x0
	global_inv scope:SCOPE_DEV
	s_barrier_signal -1
	s_barrier_wait -1
.LBB10_246:                             ;   in Loop: Header=BB10_70 Depth=1
	s_or_b32 exec_lo, exec_lo, s18
	s_delay_alu instid0(SALU_CYCLE_1)
	s_or_b32 exec_lo, exec_lo, s9
	s_and_saveexec_b32 s9, s8
	s_cbranch_execnz .LBB10_110
	s_branch .LBB10_111
.LBB10_247:                             ;   in Loop: Header=BB10_70 Depth=1
	s_or_b32 exec_lo, exec_lo, s21
	s_and_saveexec_b32 s21, s22
	s_delay_alu instid0(SALU_CYCLE_1)
	s_xor_b32 s21, exec_lo, s21
	s_cbranch_execz .LBB10_249
; %bb.248:                              ;   in Loop: Header=BB10_70 Depth=1
	ds_store_b32 v0, v115
	s_trap 2
.LBB10_249:                             ;   in Loop: Header=BB10_70 Depth=1
	s_or_b32 exec_lo, exec_lo, s20
	;;#ASMSTART
	s_wakeup
	;;#ASMEND
.LBB10_250:                             ;   in Loop: Header=BB10_70 Depth=1
	s_or_b32 exec_lo, exec_lo, s19
.LBB10_251:                             ;   in Loop: Header=BB10_70 Depth=1
	s_and_not1_saveexec_b32 s18, s18
	s_cbranch_execz .LBB10_253
; %bb.252:                              ;   in Loop: Header=BB10_70 Depth=1
	global_wb scope:SCOPE_DEV
	s_wait_storecnt 0x0
	s_wait_loadcnt_dscnt 0x0
	global_inv scope:SCOPE_DEV
	s_barrier_signal -1
	s_barrier_wait -1
.LBB10_253:                             ;   in Loop: Header=BB10_70 Depth=1
	s_or_b32 exec_lo, exec_lo, s18
	s_delay_alu instid0(SALU_CYCLE_1)
	s_or_b32 exec_lo, exec_lo, s9
	s_and_saveexec_b32 s9, s8
	s_cbranch_execnz .LBB10_119
	s_branch .LBB10_120
.LBB10_254:                             ;   in Loop: Header=BB10_70 Depth=1
	s_or_b32 exec_lo, exec_lo, s21
	s_and_saveexec_b32 s21, s22
	s_delay_alu instid0(SALU_CYCLE_1)
	s_xor_b32 s21, exec_lo, s21
	s_cbranch_execz .LBB10_256
; %bb.255:                              ;   in Loop: Header=BB10_70 Depth=1
	ds_store_b32 v0, v115
	s_trap 2
.LBB10_256:                             ;   in Loop: Header=BB10_70 Depth=1
	s_or_b32 exec_lo, exec_lo, s20
	;;#ASMSTART
	s_wakeup
	;;#ASMEND
.LBB10_257:                             ;   in Loop: Header=BB10_70 Depth=1
	s_or_b32 exec_lo, exec_lo, s19
.LBB10_258:                             ;   in Loop: Header=BB10_70 Depth=1
	s_and_not1_saveexec_b32 s18, s18
	s_cbranch_execz .LBB10_260
; %bb.259:                              ;   in Loop: Header=BB10_70 Depth=1
	global_wb scope:SCOPE_DEV
	s_wait_storecnt 0x0
	s_wait_loadcnt_dscnt 0x0
	global_inv scope:SCOPE_DEV
	s_barrier_signal -1
	s_barrier_wait -1
.LBB10_260:                             ;   in Loop: Header=BB10_70 Depth=1
	s_or_b32 exec_lo, exec_lo, s18
.LBB10_261:                             ;   in Loop: Header=BB10_70 Depth=1
	s_delay_alu instid0(SALU_CYCLE_1) | instskip(SKIP_2) | instid1(VALU_DEP_1)
	s_or_b32 exec_lo, exec_lo, s9
	v_dual_mov_b32 v96, v0 :: v_dual_sub_nc_u32 v97, v1, v54
	s_mov_b32 s18, exec_lo
	v_cmpx_lt_i32_e32 0, v97
	s_cbranch_execz .LBB10_287
; %bb.262:                              ;   in Loop: Header=BB10_70 Depth=1
	v_and_b32_e32 v10, 7, v26
	v_mov_b64_e32 v[98:99], 0
	v_dual_mov_b32 v112, v3 :: v_dual_add_nc_u32 v11, 1, v26
	s_mov_b32 s19, 0
	s_delay_alu instid0(VALU_DEP_3) | instskip(SKIP_1) | instid1(VALU_DEP_1)
	v_mul_lo_u32 v12, v10, s14
	v_not_b32_e32 v10, v54
	v_dual_mov_b32 v96, v0 :: v_dual_add_nc_u32 v1, v10, v1
	s_delay_alu instid0(VALU_DEP_3) | instskip(NEXT) | instid1(VALU_DEP_1)
	v_ashrrev_i32_e32 v13, 31, v12
	v_lshl_add_u64 v[100:101], v[12:13], 4, v[86:87]
	s_branch .LBB10_264
.LBB10_263:                             ;   in Loop: Header=BB10_264 Depth=2
	v_dual_sub_nc_u32 v97, v97, v68 :: v_dual_add_nc_u32 v96, v96, v2
	v_add_nc_u64_e32 v[98:99], v[98:99], v[68:69]
	s_wait_xcnt 0x0
	v_add_nc_u64_e32 v[100:101], v[100:101], v[82:83]
	v_add_nc_u32_e32 v112, v112, v114
	v_cmp_gt_i32_e32 vcc_lo, 1, v97
	s_or_b32 s19, vcc_lo, s19
	s_delay_alu instid0(SALU_CYCLE_1)
	s_and_not1_b32 exec_lo, exec_lo, s19
	s_cbranch_execz .LBB10_286
.LBB10_264:                             ;   Parent Loop BB10_70 Depth=1
                                        ; =>  This Inner Loop Header: Depth=2
	v_add_nc_u64_e32 v[102:103], v[80:81], v[98:99]
	v_min_u32_e32 v48, 8, v97
	s_mov_b32 s9, exec_lo
	v_dual_mov_b32 v113, 0 :: v_dual_mov_b32 v117, 0
	s_delay_alu instid0(VALU_DEP_3) | instskip(SKIP_4) | instid1(VALU_DEP_1)
	v_dual_mov_b32 v13, v103 :: v_dual_bitop2_b32 v12, -4, v102 bitop3:0x40
	v_and_b32_e32 v102, 3, v102
	global_load_b32 v10, v[12:13], off th:TH_LOAD_NT
	v_add_nc_u32_e32 v48, v102, v48
	s_wait_xcnt 0x0
	v_cmpx_lt_u32_e32 4, v48
	s_cbranch_execz .LBB10_266
; %bb.265:                              ;   in Loop: Header=BB10_264 Depth=2
	global_load_b32 v117, v[12:13], off offset:4 th:TH_LOAD_NT
.LBB10_266:                             ;   in Loop: Header=BB10_264 Depth=2
	s_wait_xcnt 0x0
	s_or_b32 exec_lo, exec_lo, s9
	s_delay_alu instid0(SALU_CYCLE_1)
	s_mov_b32 s9, exec_lo
	v_cmpx_lt_u64_e32 8, v[48:49]
	s_cbranch_execz .LBB10_268
; %bb.267:                              ;   in Loop: Header=BB10_264 Depth=2
	global_load_b32 v113, v[12:13], off offset:8 th:TH_LOAD_NT
.LBB10_268:                             ;   in Loop: Header=BB10_264 Depth=2
	s_wait_xcnt 0x0
	s_or_b32 exec_lo, exec_lo, s9
	v_add_nc_u64_e32 v[102:103], v[84:85], v[98:99]
	v_cmp_lt_u32_e32 vcc_lo, 7, v97
	s_wait_loadcnt 0x0
	v_alignbit_b32 v10, v117, v10, v112
	v_alignbit_b32 v12, v113, v117, v112
	v_mov_b32_e32 v13, v11
	s_mov_b32 s9, -1
	s_cmp_lg_u32 vcc_lo, exec_lo
	global_store_b128 v[100:101], v[10:13], off
	s_cbranch_scc0 .LBB10_284
; %bb.269:                              ;   in Loop: Header=BB10_264 Depth=2
	s_mov_b32 s20, exec_lo
	flat_store_b8 v[102:103], v10
	s_wait_xcnt 0x0
	v_cmpx_ne_u32_e64 v1, v98
	s_cbranch_execz .LBB10_271
; %bb.270:                              ;   in Loop: Header=BB10_264 Depth=2
	v_lshrrev_b32_e32 v13, 8, v10
	flat_store_b8 v[102:103], v13 offset:1
.LBB10_271:                             ;   in Loop: Header=BB10_264 Depth=2
	s_wait_xcnt 0x0
	s_or_b32 exec_lo, exec_lo, s20
	s_delay_alu instid0(SALU_CYCLE_1)
	s_mov_b32 s20, exec_lo
	v_cmpx_lt_u32_e32 2, v97
	s_cbranch_execz .LBB10_273
; %bb.272:                              ;   in Loop: Header=BB10_264 Depth=2
	flat_store_d16_hi_b8 v[102:103], v10 offset:2
.LBB10_273:                             ;   in Loop: Header=BB10_264 Depth=2
	s_wait_xcnt 0x0
	s_or_b32 exec_lo, exec_lo, s20
	s_delay_alu instid0(SALU_CYCLE_1)
	s_mov_b32 s20, exec_lo
	v_cmpx_lt_u32_e32 3, v97
	s_cbranch_execz .LBB10_275
; %bb.274:                              ;   in Loop: Header=BB10_264 Depth=2
	v_lshrrev_b32_e32 v13, 24, v10
	flat_store_b8 v[102:103], v13 offset:3
.LBB10_275:                             ;   in Loop: Header=BB10_264 Depth=2
	s_wait_xcnt 0x0
	s_or_b32 exec_lo, exec_lo, s20
	s_delay_alu instid0(SALU_CYCLE_1)
	s_mov_b32 s20, exec_lo
	v_cmpx_lt_u32_e32 4, v97
	s_cbranch_execz .LBB10_277
; %bb.276:                              ;   in Loop: Header=BB10_264 Depth=2
	flat_store_b8 v[102:103], v12 offset:4
.LBB10_277:                             ;   in Loop: Header=BB10_264 Depth=2
	s_wait_xcnt 0x0
	s_or_b32 exec_lo, exec_lo, s20
	s_delay_alu instid0(SALU_CYCLE_1)
	s_mov_b32 s20, exec_lo
	v_cmpx_lt_u32_e32 5, v97
	s_cbranch_execz .LBB10_279
; %bb.278:                              ;   in Loop: Header=BB10_264 Depth=2
	v_lshrrev_b32_e32 v13, 8, v12
	flat_store_b8 v[102:103], v13 offset:5
.LBB10_279:                             ;   in Loop: Header=BB10_264 Depth=2
	s_wait_xcnt 0x0
	s_or_b32 exec_lo, exec_lo, s20
	s_delay_alu instid0(SALU_CYCLE_1)
	s_mov_b32 s20, exec_lo
	v_cmpx_lt_u32_e32 6, v97
	s_cbranch_execz .LBB10_281
; %bb.280:                              ;   in Loop: Header=BB10_264 Depth=2
	flat_store_d16_hi_b8 v[102:103], v12 offset:6
.LBB10_281:                             ;   in Loop: Header=BB10_264 Depth=2
	s_wait_xcnt 0x0
	s_or_b32 exec_lo, exec_lo, s20
	s_and_saveexec_b32 s9, vcc_lo
	s_cbranch_execz .LBB10_283
; %bb.282:                              ;   in Loop: Header=BB10_264 Depth=2
	v_lshrrev_b32_e32 v13, 24, v12
	flat_store_b8 v[102:103], v13 offset:7
.LBB10_283:                             ;   in Loop: Header=BB10_264 Depth=2
	s_wait_xcnt 0x0
	s_or_b32 exec_lo, exec_lo, s9
	s_mov_b32 s9, 0
.LBB10_284:                             ;   in Loop: Header=BB10_264 Depth=2
	s_delay_alu instid0(SALU_CYCLE_1)
	s_and_b32 vcc_lo, exec_lo, s9
	s_cbranch_vccz .LBB10_263
; %bb.285:                              ;   in Loop: Header=BB10_264 Depth=2
	v_dual_mov_b32 v118, v10 :: v_dual_mov_b32 v119, v12
	global_store_b64 v[102:103], v[118:119], off
	s_branch .LBB10_263
.LBB10_286:                             ;   in Loop: Header=BB10_70 Depth=1
	s_or_b32 exec_lo, exec_lo, s19
.LBB10_287:                             ;   in Loop: Header=BB10_70 Depth=1
	s_delay_alu instid0(SALU_CYCLE_1) | instskip(SKIP_2) | instid1(VALU_DEP_2)
	s_or_b32 exec_lo, exec_lo, s18
	v_and_b32_e32 v48, 0x7ffffff8, v26
	v_cmp_gt_i32_e64 s9, s14, v96
	v_cmp_eq_u64_e32 vcc_lo, 0x7ffffff8, v[48:49]
	s_and_b32 s18, vcc_lo, s9
	s_delay_alu instid0(SALU_CYCLE_1)
	s_and_saveexec_b32 s9, s18
	s_cbranch_execz .LBB10_290
; %bb.288:                              ;   in Loop: Header=BB10_70 Depth=1
	v_dual_ashrrev_i32 v97, 31, v96 :: v_dual_bitop2_b32 v1, 7, v26 bitop3:0x40
	s_mov_b32 s18, 0
	s_delay_alu instid0(VALU_DEP_1) | instskip(NEXT) | instid1(VALU_DEP_1)
	v_mul_lo_u32 v10, v1, s14
	v_ashrrev_i32_e32 v11, 31, v10
	s_delay_alu instid0(VALU_DEP_1) | instskip(NEXT) | instid1(VALU_DEP_1)
	v_lshlrev_b64_e32 v[10:11], 4, v[10:11]
	v_lshl_add_u64 v[10:11], v[96:97], 4, v[10:11]
	s_delay_alu instid0(VALU_DEP_1)
	v_add_nc_u64_e32 v[98:99], v[24:25], v[10:11]
	v_dual_mov_b32 v10, v49 :: v_dual_add_nc_u32 v11, 1, v26
.LBB10_289:                             ;   Parent Loop BB10_70 Depth=1
                                        ; =>  This Inner Loop Header: Depth=2
	s_delay_alu instid0(VALU_DEP_1) | instskip(NEXT) | instid1(VALU_DEP_2)
	v_dual_mov_b32 v12, v10 :: v_dual_add_nc_u32 v96, v96, v2
	v_mov_b32_e32 v13, v11
	s_delay_alu instid0(VALU_DEP_2) | instskip(SKIP_4) | instid1(SALU_CYCLE_1)
	v_cmp_le_i32_e32 vcc_lo, s14, v96
	global_store_b128 v[98:99], v[10:13], off
	s_wait_xcnt 0x0
	v_add_nc_u64_e32 v[98:99], v[98:99], v[82:83]
	s_or_b32 s18, vcc_lo, s18
	s_and_not1_b32 exec_lo, exec_lo, s18
	s_cbranch_execnz .LBB10_289
.LBB10_290:                             ;   in Loop: Header=BB10_70 Depth=1
	s_or_b32 exec_lo, exec_lo, s9
	v_add_nc_u64_e32 v[26:27], 1, v[26:27]
                                        ; implicit-def: $vgpr1
                                        ; implicit-def: $vgpr12
.LBB10_291:                             ;   in Loop: Header=BB10_70 Depth=1
	s_and_not1_saveexec_b32 s17, s17
	s_cbranch_execz .LBB10_68
; %bb.292:                              ;   in Loop: Header=BB10_70 Depth=1
	s_and_saveexec_b32 s18, s3
	s_cbranch_execz .LBB10_308
; %bb.293:                              ;   in Loop: Header=BB10_70 Depth=1
	v_add_nc_u64_e32 v[10:11], 1, v[8:9]
	s_wait_loadcnt_dscnt 0x0
	v_add_nc_u64_e32 v[96:97], 8, v[52:53]
	s_mov_b32 s19, exec_lo
	s_delay_alu instid0(VALU_DEP_1)
	v_cmpx_lt_u64_e64 v[96:97], v[10:11]
	s_cbranch_execz .LBB10_305
; %bb.294:                              ;   in Loop: Header=BB10_70 Depth=1
	s_mov_b32 s20, 0
	s_mov_b32 s24, 0
	v_cmp_eq_u32_e32 vcc_lo, 0, v116
                                        ; implicit-def: $sgpr21
                                        ; implicit-def: $sgpr22
                                        ; implicit-def: $sgpr23
	s_branch .LBB10_297
.LBB10_295:                             ;   in Loop: Header=BB10_297 Depth=2
	s_or_b32 exec_lo, exec_lo, s29
	s_delay_alu instid0(SALU_CYCLE_1)
	s_and_not1_b32 s9, s23, exec_lo
	s_and_b32 s23, s27, exec_lo
	s_and_not1_b32 s22, s22, exec_lo
	s_and_b32 s26, s26, exec_lo
	s_or_b32 s23, s9, s23
	s_or_b32 s22, s22, s26
.LBB10_296:                             ;   in Loop: Header=BB10_297 Depth=2
	s_or_b32 exec_lo, exec_lo, s25
	s_delay_alu instid0(SALU_CYCLE_1) | instskip(NEXT) | instid1(SALU_CYCLE_1)
	s_and_b32 s9, exec_lo, s22
	s_or_b32 s20, s9, s20
	s_and_not1_b32 s9, s21, exec_lo
	s_and_b32 s21, s23, exec_lo
	s_delay_alu instid0(SALU_CYCLE_1)
	s_or_b32 s21, s9, s21
	s_and_not1_b32 exec_lo, exec_lo, s20
	s_cbranch_execz .LBB10_302
.LBB10_297:                             ;   Parent Loop BB10_70 Depth=1
                                        ; =>  This Inner Loop Header: Depth=2
	s_sleep 1
	s_wait_loadcnt_dscnt 0x0
	flat_load_b64 v[52:53], v[34:35] scope:SCOPE_DEV
	v_mov_b32_e32 v116, 1
	s_or_b32 s23, s23, exec_lo
	s_or_b32 s22, s22, exec_lo
                                        ; implicit-def: $vgpr9
	s_wait_xcnt 0x0
	s_and_saveexec_b32 s25, vcc_lo
	s_cbranch_execz .LBB10_296
; %bb.298:                              ;   in Loop: Header=BB10_297 Depth=2
	s_add_co_i32 s24, s24, 1
	s_mov_b32 s26, -1
	s_cmp_lg_u32 s24, 0x2710
	s_mov_b32 s27, -1
	s_cselect_b32 s28, -1, 0
	s_cmp_eq_u32 s24, 0x2710
                                        ; implicit-def: $vgpr9
	s_cbranch_scc1 .LBB10_300
; %bb.299:                              ;   in Loop: Header=BB10_297 Depth=2
	v_mov_b32_e32 v116, 1
	s_and_saveexec_b32 s29, s28
	s_cbranch_execz .LBB10_295
	s_branch .LBB10_301
.LBB10_300:                             ;   in Loop: Header=BB10_297 Depth=2
	s_trap 2
	ds_load_b64 v[96:97], v0
	s_and_not1_b32 s24, s28, exec_lo
	s_mov_b32 s27, 0
	s_wait_storecnt 0x0
	s_wait_loadcnt_dscnt 0x0
	flat_load_b32 v9, v[96:97] scope:SCOPE_SYS
	s_wait_loadcnt_dscnt 0x0
	global_inv scope:SCOPE_SYS
	v_cmp_eq_u32_e64 s9, 0, v9
	s_and_b32 s9, s9, exec_lo
	s_delay_alu instid0(SALU_CYCLE_1)
	s_or_b32 s28, s24, s9
	s_mov_b32 s24, 0
	v_mov_b32_e32 v116, 1
	s_and_saveexec_b32 s29, s28
	s_cbranch_execz .LBB10_295
.LBB10_301:                             ;   in Loop: Header=BB10_297 Depth=2
	s_wait_loadcnt_dscnt 0x0
	v_add_nc_u64_e32 v[96:97], 8, v[52:53]
	v_mov_b32_e32 v116, 0
	s_or_b32 s27, s27, exec_lo
	s_delay_alu instid0(VALU_DEP_2)
	v_cmp_ge_u64_e64 s9, v[96:97], v[10:11]
	s_or_not1_b32 s26, s9, exec_lo
	s_branch .LBB10_295
.LBB10_302:                             ;   in Loop: Header=BB10_70 Depth=1
	s_or_b32 exec_lo, exec_lo, s20
	s_xor_b32 s9, s21, -1
	s_delay_alu instid0(SALU_CYCLE_1) | instskip(NEXT) | instid1(SALU_CYCLE_1)
	s_and_saveexec_b32 s20, s9
	s_xor_b32 s9, exec_lo, s20
	s_cbranch_execz .LBB10_304
; %bb.303:                              ;   in Loop: Header=BB10_70 Depth=1
	v_mov_b32_e32 v116, 1
	s_wait_storecnt 0x0
	s_wait_loadcnt_dscnt 0x0
	ds_store_b32 v0, v9
	s_trap 2
.LBB10_304:                             ;   in Loop: Header=BB10_70 Depth=1
	s_or_b32 exec_lo, exec_lo, s9
.LBB10_305:                             ;   in Loop: Header=BB10_70 Depth=1
	s_delay_alu instid0(SALU_CYCLE_1)
	s_or_b32 exec_lo, exec_lo, s19
	s_and_saveexec_b32 s9, s4
	s_cbranch_execz .LBB10_307
; %bb.306:                              ;   in Loop: Header=BB10_70 Depth=1
	v_and_b32_e32 v48, 0x7ffffff8, v8
	v_and_b32_e32 v8, 7, v8
	s_delay_alu instid0(VALU_DEP_2) | instskip(NEXT) | instid1(VALU_DEP_2)
	v_cmp_eq_u64_e32 vcc_lo, 0x7ffffff8, v[48:49]
	v_mad_nc_u64_u32 v[8:9], v8, 24, v[6:7]
	v_cndmask_b32_e64 v12, v12, s14, vcc_lo
	s_delay_alu instid0(VALU_DEP_1) | instskip(NEXT) | instid1(VALU_DEP_1)
	v_lshlrev_b32_e32 v12, 4, v12
	v_ashrrev_i32_e32 v13, 31, v12
	flat_store_b64 v[8:9], v[12:13] offset:8 scope:SCOPE_SYS
	s_wait_storecnt 0x0
.LBB10_307:                             ;   in Loop: Header=BB10_70 Depth=1
	s_wait_xcnt 0x0
	s_or_b32 exec_lo, exec_lo, s9
	v_mov_b64_e32 v[8:9], v[10:11]
.LBB10_308:                             ;   in Loop: Header=BB10_70 Depth=1
	s_or_b32 exec_lo, exec_lo, s18
	s_and_saveexec_b32 s9, s5
	s_cbranch_execz .LBB10_327
; %bb.309:                              ;   in Loop: Header=BB10_70 Depth=1
	s_and_saveexec_b32 s18, s6
	s_delay_alu instid0(SALU_CYCLE_1)
	s_xor_b32 s18, exec_lo, s18
	s_cbranch_execz .LBB10_324
; %bb.310:                              ;   in Loop: Header=BB10_70 Depth=1
	s_and_saveexec_b32 s19, s7
	s_cbranch_execz .LBB10_323
; %bb.311:                              ;   in Loop: Header=BB10_70 Depth=1
	s_mov_b32 s21, exec_lo
	s_mov_b32 s20, exec_lo
	v_mbcnt_lo_u32_b32 v10, s21, 0
	global_wb scope:SCOPE_DEV
	s_wait_storecnt 0x0
	s_wait_loadcnt_dscnt 0x0
	global_inv scope:SCOPE_DEV
	v_cmpx_eq_u32_e32 0, v10
	s_cbranch_execz .LBB10_313
; %bb.312:                              ;   in Loop: Header=BB10_70 Depth=1
	s_bcnt1_i32_b32 s21, s21
	s_delay_alu instid0(SALU_CYCLE_1)
	v_mov_b32_e32 v48, s21
	s_wait_loadcnt 0x0
	ds_add_u64 v0, v[48:49]
	s_trap 2
.LBB10_313:                             ;   in Loop: Header=BB10_70 Depth=1
	s_or_b32 exec_lo, exec_lo, s20
	s_trap 2
	ds_load_b64 v[10:11], v0
	s_wait_dscnt 0x0
	v_add_nc_u64_e32 v[36:37], v[36:37], v[66:67]
	s_mov_b32 s20, exec_lo
	s_delay_alu instid0(VALU_DEP_1)
	v_cmpx_lt_u64_e64 v[10:11], v[36:37]
	s_cbranch_execz .LBB10_322
; %bb.314:                              ;   in Loop: Header=BB10_70 Depth=1
	s_mov_b32 s21, 0
	s_mov_b32 s24, 0
                                        ; implicit-def: $sgpr22
                                        ; implicit-def: $sgpr23
	s_branch .LBB10_316
.LBB10_315:                             ;   in Loop: Header=BB10_316 Depth=2
	s_or_b32 exec_lo, exec_lo, s26
	s_delay_alu instid0(SALU_CYCLE_1) | instskip(NEXT) | instid1(SALU_CYCLE_1)
	s_and_b32 s25, exec_lo, s27
	s_or_b32 s21, s25, s21
	s_and_not1_b32 s22, s22, exec_lo
	s_and_b32 s25, s23, exec_lo
	s_delay_alu instid0(SALU_CYCLE_1)
	s_or_b32 s22, s22, s25
	s_and_not1_b32 exec_lo, exec_lo, s21
	s_cbranch_execz .LBB10_320
.LBB10_316:                             ;   Parent Loop BB10_70 Depth=1
                                        ; =>  This Inner Loop Header: Depth=2
	s_add_co_i32 s24, s24, 1
	s_delay_alu instid0(SALU_CYCLE_1) | instskip(SKIP_1) | instid1(SALU_CYCLE_1)
	s_cmp_lg_u32 s24, 0x2710
	s_cselect_b32 s25, -1, 0
	s_and_b32 vcc_lo, exec_lo, s25
	s_cbranch_vccz .LBB10_318
; %bb.317:                              ;   in Loop: Header=BB10_316 Depth=2
	s_mov_b32 s27, -1
	s_or_b32 s23, s23, exec_lo
	s_and_saveexec_b32 s26, s25
	s_cbranch_execz .LBB10_315
	s_branch .LBB10_319
.LBB10_318:                             ;   in Loop: Header=BB10_316 Depth=2
	s_trap 2
	ds_load_b64 v[10:11], v0
	s_and_not1_b32 s25, s25, exec_lo
	s_mov_b32 s24, 0
	s_wait_loadcnt_dscnt 0x0
	flat_load_b32 v10, v[10:11] scope:SCOPE_SYS
	s_wait_loadcnt_dscnt 0x0
	global_inv scope:SCOPE_SYS
	v_cmp_eq_u32_e32 vcc_lo, 0, v10
	s_and_b32 s26, vcc_lo, exec_lo
	s_delay_alu instid0(SALU_CYCLE_1)
	s_or_b32 s25, s25, s26
	s_mov_b32 s27, -1
	s_or_b32 s23, s23, exec_lo
	s_and_saveexec_b32 s26, s25
	s_cbranch_execz .LBB10_315
.LBB10_319:                             ;   in Loop: Header=BB10_316 Depth=2
	s_sleep 1
	s_trap 2
	ds_load_b64 v[10:11], v0
	s_wait_dscnt 0x0
	s_and_not1_b32 s23, s23, exec_lo
	v_cmp_ge_u64_e32 vcc_lo, v[10:11], v[36:37]
	s_or_not1_b32 s27, vcc_lo, exec_lo
	s_branch .LBB10_315
.LBB10_320:                             ;   in Loop: Header=BB10_70 Depth=1
	s_or_b32 exec_lo, exec_lo, s21
	s_and_saveexec_b32 s21, s22
	s_delay_alu instid0(SALU_CYCLE_1)
	s_xor_b32 s21, exec_lo, s21
	s_cbranch_execz .LBB10_322
; %bb.321:                              ;   in Loop: Header=BB10_70 Depth=1
	ds_store_b32 v0, v115
	s_trap 2
.LBB10_322:                             ;   in Loop: Header=BB10_70 Depth=1
	s_or_b32 exec_lo, exec_lo, s20
	;;#ASMSTART
	s_wakeup
	;;#ASMEND
.LBB10_323:                             ;   in Loop: Header=BB10_70 Depth=1
	s_or_b32 exec_lo, exec_lo, s19
.LBB10_324:                             ;   in Loop: Header=BB10_70 Depth=1
	s_and_not1_saveexec_b32 s18, s18
	s_cbranch_execz .LBB10_326
; %bb.325:                              ;   in Loop: Header=BB10_70 Depth=1
	global_wb scope:SCOPE_DEV
	s_wait_storecnt 0x0
	s_wait_loadcnt_dscnt 0x0
	global_inv scope:SCOPE_DEV
	s_barrier_signal -1
	s_barrier_wait -1
.LBB10_326:                             ;   in Loop: Header=BB10_70 Depth=1
	s_or_b32 exec_lo, exec_lo, s18
.LBB10_327:                             ;   in Loop: Header=BB10_70 Depth=1
	s_delay_alu instid0(SALU_CYCLE_1) | instskip(SKIP_3) | instid1(VALU_DEP_2)
	s_or_b32 exec_lo, exec_lo, s9
	v_dual_mov_b32 v96, v0 :: v_dual_sub_nc_u32 v97, v1, v54
	v_dual_add_nc_u32 v11, 1, v26 :: v_dual_bitop2_b32 v1, 7, v26 bitop3:0x40
	s_mov_b32 s9, exec_lo
	v_cmpx_lt_i32_e32 0, v97
	s_cbranch_execz .LBB10_335
; %bb.328:                              ;   in Loop: Header=BB10_70 Depth=1
	s_delay_alu instid0(VALU_DEP_2) | instskip(SKIP_3) | instid1(VALU_DEP_3)
	v_mul_lo_u32 v12, v1, s14
	v_mov_b64_e32 v[98:99], v[80:81]
	v_mov_b32_e32 v96, v0
	s_mov_b32 s18, 0
	v_dual_mov_b32 v102, v3 :: v_dual_ashrrev_i32 v13, 31, v12
	s_delay_alu instid0(VALU_DEP_1)
	v_lshl_add_u64 v[100:101], v[12:13], 4, v[86:87]
	s_branch .LBB10_330
.LBB10_329:                             ;   in Loop: Header=BB10_330 Depth=2
	s_wait_xcnt 0x0
	s_or_b32 exec_lo, exec_lo, s19
	s_wait_loadcnt 0x0
	v_alignbit_b32 v10, v112, v10, v102
	v_alignbit_b32 v12, v103, v112, v102
	v_dual_mov_b32 v13, v11 :: v_dual_sub_nc_u32 v97, v97, v68
	v_add_nc_u64_e32 v[98:99], v[98:99], v[68:69]
	v_add_nc_u32_e32 v96, v96, v2
	v_add_nc_u32_e32 v102, v102, v114
	global_store_b128 v[100:101], v[10:13], off
	v_cmp_gt_i32_e32 vcc_lo, 1, v97
	s_wait_xcnt 0x0
	v_add_nc_u64_e32 v[100:101], v[100:101], v[82:83]
	s_or_b32 s18, vcc_lo, s18
	s_delay_alu instid0(SALU_CYCLE_1)
	s_and_not1_b32 exec_lo, exec_lo, s18
	s_cbranch_execz .LBB10_334
.LBB10_330:                             ;   Parent Loop BB10_70 Depth=1
                                        ; =>  This Inner Loop Header: Depth=2
	s_delay_alu instid0(VALU_DEP_4)
	v_dual_mov_b32 v13, v99 :: v_dual_bitop2_b32 v12, -4, v98 bitop3:0x40
	v_min_u32_e32 v48, 8, v97
	v_dual_mov_b32 v112, 0 :: v_dual_bitop2_b32 v103, 3, v98 bitop3:0x40
	s_mov_b32 s19, exec_lo
	global_load_b32 v10, v[12:13], off th:TH_LOAD_NT
	v_dual_mov_b32 v103, 0 :: v_dual_add_nc_u32 v48, v103, v48
	s_wait_xcnt 0x0
	s_delay_alu instid0(VALU_DEP_1)
	v_cmpx_lt_u32_e32 4, v48
	s_cbranch_execz .LBB10_332
; %bb.331:                              ;   in Loop: Header=BB10_330 Depth=2
	global_load_b32 v112, v[12:13], off offset:4 th:TH_LOAD_NT
.LBB10_332:                             ;   in Loop: Header=BB10_330 Depth=2
	s_wait_xcnt 0x0
	s_or_b32 exec_lo, exec_lo, s19
	s_delay_alu instid0(SALU_CYCLE_1)
	s_mov_b32 s19, exec_lo
	v_cmpx_lt_u64_e32 8, v[48:49]
	s_cbranch_execz .LBB10_329
; %bb.333:                              ;   in Loop: Header=BB10_330 Depth=2
	global_load_b32 v103, v[12:13], off offset:8 th:TH_LOAD_NT
	s_branch .LBB10_329
.LBB10_334:                             ;   in Loop: Header=BB10_70 Depth=1
	s_or_b32 exec_lo, exec_lo, s18
.LBB10_335:                             ;   in Loop: Header=BB10_70 Depth=1
	s_delay_alu instid0(SALU_CYCLE_1) | instskip(SKIP_2) | instid1(VALU_DEP_2)
	s_or_b32 exec_lo, exec_lo, s9
	v_and_b32_e32 v48, 0x7ffffff8, v26
	v_cmp_gt_i32_e64 s9, s14, v96
	v_cmp_eq_u64_e32 vcc_lo, 0x7ffffff8, v[48:49]
	s_and_b32 s18, vcc_lo, s9
	s_delay_alu instid0(SALU_CYCLE_1)
	s_and_saveexec_b32 s9, s18
	s_cbranch_execz .LBB10_67
; %bb.336:                              ;   in Loop: Header=BB10_70 Depth=1
	v_mul_lo_u32 v12, v1, s14
	v_ashrrev_i32_e32 v97, 31, v96
	s_mov_b32 s18, 0
	s_delay_alu instid0(VALU_DEP_2) | instskip(NEXT) | instid1(VALU_DEP_1)
	v_dual_mov_b32 v10, v49 :: v_dual_ashrrev_i32 v13, 31, v12
	v_lshlrev_b64_e32 v[12:13], 4, v[12:13]
	s_delay_alu instid0(VALU_DEP_1) | instskip(NEXT) | instid1(VALU_DEP_1)
	v_lshl_add_u64 v[12:13], v[96:97], 4, v[12:13]
	v_add_nc_u64_e32 v[98:99], v[24:25], v[12:13]
.LBB10_337:                             ;   Parent Loop BB10_70 Depth=1
                                        ; =>  This Inner Loop Header: Depth=2
	s_delay_alu instid0(VALU_DEP_4) | instskip(SKIP_1) | instid1(VALU_DEP_2)
	v_dual_mov_b32 v12, v10 :: v_dual_add_nc_u32 v96, v96, v2
	v_mov_b32_e32 v13, v11
	v_cmp_le_i32_e32 vcc_lo, s14, v96
	global_store_b128 v[98:99], v[10:13], off
	s_wait_xcnt 0x0
	v_add_nc_u64_e32 v[98:99], v[98:99], v[82:83]
	s_or_b32 s18, vcc_lo, s18
	s_delay_alu instid0(SALU_CYCLE_1)
	s_and_not1_b32 exec_lo, exec_lo, s18
	s_cbranch_execnz .LBB10_337
	s_branch .LBB10_67
.LBB10_338:
	s_or_b32 exec_lo, exec_lo, s10
	s_delay_alu instid0(SALU_CYCLE_1)
	s_or_b32 exec_lo, exec_lo, s13
	s_and_saveexec_b32 s1, s12
	s_cbranch_execz .LBB10_52
.LBB10_339:
	s_wait_dscnt 0x0
	flat_store_b64 v[18:19], v[28:29] offset:104
	s_wait_xcnt 0x0
	s_or_b32 exec_lo, exec_lo, s1
	s_and_saveexec_b32 s1, s0
	s_cbranch_execnz .LBB10_53
	s_branch .LBB10_54
.LBB10_340:
	s_or_b32 exec_lo, exec_lo, s4
	s_and_saveexec_b32 s4, s5
	s_delay_alu instid0(SALU_CYCLE_1)
	s_xor_b32 s4, exec_lo, s4
	s_cbranch_execz .LBB10_342
; %bb.341:
	v_mov_b32_e32 v0, 1
	ds_store_b32 v0, v0
	s_trap 2
.LBB10_342:
	s_or_b32 exec_lo, exec_lo, s3
	;;#ASMSTART
	s_wakeup
	;;#ASMEND
.LBB10_343:
	s_or_b32 exec_lo, exec_lo, s2
.LBB10_344:
	s_and_not1_saveexec_b32 s1, s1
	s_cbranch_execz .LBB10_346
; %bb.345:
	global_wb scope:SCOPE_DEV
	s_wait_storecnt 0x0
	s_wait_loadcnt_dscnt 0x0
	global_inv scope:SCOPE_DEV
	s_barrier_signal -1
	s_barrier_wait -1
.LBB10_346:
	s_or_b32 exec_lo, exec_lo, s0
	s_delay_alu instid0(SALU_CYCLE_1)
	s_or_b32 exec_lo, exec_lo, s11
	s_wait_loadcnt_dscnt 0x0
	s_set_pc_i64 s[30:31]
.Lfunc_end10:
	.size	_ZN12_GLOBAL__N_17runRingIa7FuncSumIaE7ProtoLLLi0ELi4ELi0EEEviiP15ncclDevWorkColl, .Lfunc_end10-_ZN12_GLOBAL__N_17runRingIa7FuncSumIaE7ProtoLLLi0ELi4ELi0EEEviiP15ncclDevWorkColl
                                        ; -- End function
	.set .L_ZN12_GLOBAL__N_17runRingIa7FuncSumIaE7ProtoLLLi0ELi4ELi0EEEviiP15ncclDevWorkColl.num_vgpr, 120
	.set .L_ZN12_GLOBAL__N_17runRingIa7FuncSumIaE7ProtoLLLi0ELi4ELi0EEEviiP15ncclDevWorkColl.num_agpr, 0
	.set .L_ZN12_GLOBAL__N_17runRingIa7FuncSumIaE7ProtoLLLi0ELi4ELi0EEEviiP15ncclDevWorkColl.numbered_sgpr, 32
	.set .L_ZN12_GLOBAL__N_17runRingIa7FuncSumIaE7ProtoLLLi0ELi4ELi0EEEviiP15ncclDevWorkColl.num_named_barrier, 0
	.set .L_ZN12_GLOBAL__N_17runRingIa7FuncSumIaE7ProtoLLLi0ELi4ELi0EEEviiP15ncclDevWorkColl.private_seg_size, 0
	.set .L_ZN12_GLOBAL__N_17runRingIa7FuncSumIaE7ProtoLLLi0ELi4ELi0EEEviiP15ncclDevWorkColl.uses_vcc, 1
	.set .L_ZN12_GLOBAL__N_17runRingIa7FuncSumIaE7ProtoLLLi0ELi4ELi0EEEviiP15ncclDevWorkColl.uses_flat_scratch, 1
	.set .L_ZN12_GLOBAL__N_17runRingIa7FuncSumIaE7ProtoLLLi0ELi4ELi0EEEviiP15ncclDevWorkColl.has_dyn_sized_stack, 0
	.set .L_ZN12_GLOBAL__N_17runRingIa7FuncSumIaE7ProtoLLLi0ELi4ELi0EEEviiP15ncclDevWorkColl.has_recursion, 0
	.set .L_ZN12_GLOBAL__N_17runRingIa7FuncSumIaE7ProtoLLLi0ELi4ELi0EEEviiP15ncclDevWorkColl.has_indirect_call, 0
	.section	.AMDGPU.csdata,"",@progbits
; Function info:
; codeLenInByte = 12188
; TotalNumSgprs: 34
; NumVgprs: 120
; ScratchSize: 0
; MemoryBound: 1
	.text
	.p2align	2                               ; -- Begin function _Z42ncclDevFunc_Broadcast_RING_LL_Sum_i8_0_0_4v
	.type	_Z42ncclDevFunc_Broadcast_RING_LL_Sum_i8_0_0_4v,@function
_Z42ncclDevFunc_Broadcast_RING_LL_Sum_i8_0_0_4v: ; @_Z42ncclDevFunc_Broadcast_RING_LL_Sum_i8_0_0_4v
; %bb.0:
	s_wait_loadcnt_dscnt 0x0
	s_wait_kmcnt 0x0
	s_mov_b32 s47, s33
	s_mov_b32 s33, s32
	s_or_saveexec_b32 s0, -1
	scratch_store_b32 off, v42, s33 offset:8 ; 4-byte Folded Spill
	s_wait_xcnt 0x0
	s_mov_b32 exec_lo, s0
	s_add_co_i32 s32, s32, 16
	s_clause 0x1
	scratch_store_b32 off, v40, s33 offset:4
	; meta instruction
	scratch_store_b32 off, v41, s33
	v_writelane_b32 v42, s30, 0
	v_writelane_b32 v42, s31, 1
	s_trap 2
	ds_load_b32 v0, v0
	s_wait_xcnt 0x1
	v_mov_b32_e32 v40, v31
	s_wait_dscnt 0x0
	v_cmp_gt_i32_e32 vcc_lo, 1, v0
	s_cbranch_vccnz .LBB11_8
; %bb.1:
	s_wait_xcnt 0x0
	v_and_b32_e32 v41, 0x3ff, v40
	s_mov_b32 s42, s12
	s_mov_b64 s[40:41], s[8:9]
	s_mov_b32 s43, 0
	s_get_pc_i64 s[44:45]
	s_add_nc_u64 s[44:45], s[44:45], _ZN12_GLOBAL__N_17runRingIa7FuncSumIaE7ProtoLLLi0ELi4ELi0EEEviiP15ncclDevWorkColl@rel64+4
	s_branch .LBB11_3
.LBB11_2:                               ;   in Loop: Header=BB11_3 Depth=1
	s_or_b32 exec_lo, exec_lo, s46
	s_trap 2
	ds_load_b32 v0, v0
	s_add_co_i32 s43, s43, 1
	s_wait_dscnt 0x0
	v_cmp_lt_i32_e32 vcc_lo, s43, v0
	s_cbranch_vccz .LBB11_8
.LBB11_3:                               ; =>This Inner Loop Header: Depth=1
	s_trap 2
	ds_load_b32 v0, v0
	s_cmp_eq_u32 s43, 0
	s_cbranch_scc1 .LBB11_6
; %bb.4:                                ;   in Loop: Header=BB11_3 Depth=1
	s_trap 2
	s_wait_dscnt 0x0
	ds_load_b32 v1, v0
	s_wait_dscnt 0x0
	v_xor_b32_e32 v1, v1, v0
	s_delay_alu instid0(VALU_DEP_1) | instskip(NEXT) | instid1(VALU_DEP_1)
	v_and_b32_e32 v1, 0xff0000, v1
	v_cmp_eq_u32_e32 vcc_lo, 0, v1
	s_cbranch_vccnz .LBB11_6
; %bb.5:                                ;   in Loop: Header=BB11_3 Depth=1
	s_wait_storecnt 0x0
	s_barrier_signal -1
	s_barrier_wait -1
	ds_load_b32 v0, v0
.LBB11_6:                               ;   in Loop: Header=BB11_3 Depth=1
	s_wait_dscnt 0x0
	v_lshrrev_b32_e32 v0, 11, v0
	s_mov_b32 s46, exec_lo
	s_delay_alu instid0(VALU_DEP_1) | instskip(NEXT) | instid1(VALU_DEP_1)
	v_and_b32_e32 v1, 0x1fe0, v0
	v_cmpx_lt_u32_e64 v41, v1
	s_cbranch_execz .LBB11_2
; %bb.7:                                ;   in Loop: Header=BB11_3 Depth=1
	s_mov_b64 s[0:1], src_shared_base
	v_dual_mov_b32 v31, v40 :: v_dual_mov_b32 v0, v41
	v_mov_b32_e32 v3, s1
	s_mov_b64 s[8:9], s[40:41]
	s_mov_b32 s12, s42
	s_swap_pc_i64 s[30:31], s[44:45]
	s_branch .LBB11_2
.LBB11_8:
	s_clause 0x1
	scratch_load_b32 v41, off, s33
	scratch_load_b32 v40, off, s33 offset:4
	v_readlane_b32 s30, v42, 0
	v_readlane_b32 s31, v42, 1
	s_mov_b32 s32, s33
	s_wait_xcnt 0x0
	s_or_saveexec_b32 s0, -1
	scratch_load_b32 v42, off, s33 offset:8 ; 4-byte Folded Reload
	s_wait_xcnt 0x0
	s_mov_b32 exec_lo, s0
	s_mov_b32 s33, s47
	s_wait_loadcnt 0x0
	s_set_pc_i64 s[30:31]
.Lfunc_end11:
	.size	_Z42ncclDevFunc_Broadcast_RING_LL_Sum_i8_0_0_4v, .Lfunc_end11-_Z42ncclDevFunc_Broadcast_RING_LL_Sum_i8_0_0_4v
                                        ; -- End function
	.set .L_Z42ncclDevFunc_Broadcast_RING_LL_Sum_i8_0_0_4v.num_vgpr, max(43, .L_ZN12_GLOBAL__N_17runRingIa7FuncSumIaE7ProtoLLLi0ELi4ELi0EEEviiP15ncclDevWorkColl.num_vgpr)
	.set .L_Z42ncclDevFunc_Broadcast_RING_LL_Sum_i8_0_0_4v.num_agpr, max(0, .L_ZN12_GLOBAL__N_17runRingIa7FuncSumIaE7ProtoLLLi0ELi4ELi0EEEviiP15ncclDevWorkColl.num_agpr)
	.set .L_Z42ncclDevFunc_Broadcast_RING_LL_Sum_i8_0_0_4v.numbered_sgpr, max(48, .L_ZN12_GLOBAL__N_17runRingIa7FuncSumIaE7ProtoLLLi0ELi4ELi0EEEviiP15ncclDevWorkColl.numbered_sgpr)
	.set .L_Z42ncclDevFunc_Broadcast_RING_LL_Sum_i8_0_0_4v.num_named_barrier, max(0, .L_ZN12_GLOBAL__N_17runRingIa7FuncSumIaE7ProtoLLLi0ELi4ELi0EEEviiP15ncclDevWorkColl.num_named_barrier)
	.set .L_Z42ncclDevFunc_Broadcast_RING_LL_Sum_i8_0_0_4v.private_seg_size, 16+max(.L_ZN12_GLOBAL__N_17runRingIa7FuncSumIaE7ProtoLLLi0ELi4ELi0EEEviiP15ncclDevWorkColl.private_seg_size)
	.set .L_Z42ncclDevFunc_Broadcast_RING_LL_Sum_i8_0_0_4v.uses_vcc, or(1, .L_ZN12_GLOBAL__N_17runRingIa7FuncSumIaE7ProtoLLLi0ELi4ELi0EEEviiP15ncclDevWorkColl.uses_vcc)
	.set .L_Z42ncclDevFunc_Broadcast_RING_LL_Sum_i8_0_0_4v.uses_flat_scratch, or(1, .L_ZN12_GLOBAL__N_17runRingIa7FuncSumIaE7ProtoLLLi0ELi4ELi0EEEviiP15ncclDevWorkColl.uses_flat_scratch)
	.set .L_Z42ncclDevFunc_Broadcast_RING_LL_Sum_i8_0_0_4v.has_dyn_sized_stack, or(0, .L_ZN12_GLOBAL__N_17runRingIa7FuncSumIaE7ProtoLLLi0ELi4ELi0EEEviiP15ncclDevWorkColl.has_dyn_sized_stack)
	.set .L_Z42ncclDevFunc_Broadcast_RING_LL_Sum_i8_0_0_4v.has_recursion, or(1, .L_ZN12_GLOBAL__N_17runRingIa7FuncSumIaE7ProtoLLLi0ELi4ELi0EEEviiP15ncclDevWorkColl.has_recursion)
	.set .L_Z42ncclDevFunc_Broadcast_RING_LL_Sum_i8_0_0_4v.has_indirect_call, or(0, .L_ZN12_GLOBAL__N_17runRingIa7FuncSumIaE7ProtoLLLi0ELi4ELi0EEEviiP15ncclDevWorkColl.has_indirect_call)
	.section	.AMDGPU.csdata,"",@progbits
; Function info:
; codeLenInByte = 436
; TotalNumSgprs: 50
; NumVgprs: 120
; ScratchSize: 16
; MemoryBound: 0
	.text
	.p2align	2                               ; -- Begin function _ZN12_GLOBAL__N_17runRingIa7FuncSumIaE11ProtoSimpleILi1ELi1ELi0ELi4ELi0ELi0EELi0ELi4ELi0EEEviiP15ncclDevWorkColl
	.type	_ZN12_GLOBAL__N_17runRingIa7FuncSumIaE11ProtoSimpleILi1ELi1ELi0ELi4ELi0ELi0EELi0ELi4ELi0EEEviiP15ncclDevWorkColl,@function
_ZN12_GLOBAL__N_17runRingIa7FuncSumIaE11ProtoSimpleILi1ELi1ELi0ELi4ELi0ELi0EELi0ELi4ELi0EEEviiP15ncclDevWorkColl: ; @_ZN12_GLOBAL__N_17runRingIa7FuncSumIaE11ProtoSimpleILi1ELi1ELi0ELi4ELi0ELi0EELi0ELi4ELi0EEEviiP15ncclDevWorkColl
; %bb.0:
	s_wait_loadcnt_dscnt 0x0
	s_wait_kmcnt 0x0
	s_mov_b32 s60, s33
	s_mov_b32 s33, s32
	s_or_saveexec_b32 s0, -1
	scratch_store_b32 off, v107, s33 offset:140 ; 4-byte Folded Spill
	s_wait_xcnt 0x0
	s_mov_b32 exec_lo, s0
	s_addk_co_i32 s32, 0xa0
	s_clause 0x22
	scratch_store_b32 off, v40, s33 offset:136
	; meta instruction
	scratch_store_b32 off, v41, s33 offset:132
	; meta instruction
	;; [unrolled: 2-line block ×34, first 2 shown]
	scratch_store_b32 off, v106, s33
	v_writelane_b32 v107, s30, 0
	v_writelane_b32 v107, s31, 1
	s_trap 2
	ds_load_b64 v[4:5], v0
	s_clause 0x1
	flat_load_b64 v[16:17], v[2:3]
	flat_load_u16 v9, v[2:3] offset:8
	ds_load_b32 v6, v0
	s_mov_b32 s0, exec_lo
                                        ; implicit-def: $vgpr34_vgpr35
                                        ; implicit-def: $vgpr14_vgpr15
	s_wait_dscnt 0x3
	flat_load_b64 v[36:37], v[4:5]
                                        ; implicit-def: $vgpr4_vgpr5
	s_wait_loadcnt_dscnt 0x203
	v_and_b32_e32 v7, 0xff, v16
	v_mov_b32_e32 v8, v17
	s_wait_dscnt 0x1
	s_wait_xcnt 0x0
	s_delay_alu instid0(VALU_DEP_2)
	v_cmpx_ne_u32_e64 v6, v7
	s_xor_b32 s0, exec_lo, s0
	s_cbranch_execz .LBB12_6
; %bb.1:
	v_bfe_u32 v11, v16, 8, 8
	v_not_b32_e32 v10, v7
	s_mov_b32 s1, exec_lo
                                        ; implicit-def: $vgpr34_vgpr35
                                        ; implicit-def: $vgpr4_vgpr5
                                        ; implicit-def: $vgpr14_vgpr15
	s_delay_alu instid0(VALU_DEP_2)
	v_cmpx_ne_u32_e64 v6, v11
	s_xor_b32 s1, exec_lo, s1
	s_cbranch_execz .LBB12_3
; %bb.2:
	s_clause 0x1
	flat_load_b128 v[18:21], v[2:3] offset:72
	flat_load_b64 v[4:5], v[2:3] offset:96
	v_add_nc_u32_e32 v6, v6, v10
                                        ; implicit-def: $vgpr11
                                        ; implicit-def: $vgpr10
	s_wait_loadcnt_dscnt 0x101
	s_delay_alu instid0(VALU_DEP_1) | instskip(SKIP_3) | instid1(VALU_DEP_3)
	v_mad_nc_u64_u32 v[14:15], v20, v6, v[18:19]
	s_wait_loadcnt_dscnt 0x0
	v_lshrrev_b64 v[34:35], 21, v[4:5]
	v_mov_b64_e32 v[4:5], v[20:21]
	v_mad_u32 v7, v21, v6, v15
	v_ashrrev_i32_e32 v6, 31, v6
	s_delay_alu instid0(VALU_DEP_1)
	v_mad_u32 v15, v20, v6, v7
.LBB12_3:
	s_wait_xcnt 0x0
	s_and_not1_saveexec_b32 s1, s1
	s_cbranch_execz .LBB12_5
; %bb.4:
	s_clause 0x1
	flat_load_b128 v[18:21], v[2:3] offset:72
	flat_load_b128 v[4:7], v[2:3] offset:88
	s_wait_loadcnt_dscnt 0x0
	v_dual_add_nc_u32 v6, v11, v10 :: v_dual_lshrrev_b32 v34, 10, v7
	s_delay_alu instid0(VALU_DEP_1) | instskip(NEXT) | instid1(VALU_DEP_1)
	v_mad_nc_u64_u32 v[14:15], v20, v6, v[18:19]
	v_mad_u32 v10, v21, v6, v15
	v_ashrrev_i32_e32 v6, 31, v6
	s_delay_alu instid0(VALU_DEP_1)
	v_mad_u32 v15, v20, v6, v10
.LBB12_5:
	s_wait_xcnt 0x0
	s_or_b32 exec_lo, exec_lo, s1
.LBB12_6:
	s_and_not1_saveexec_b32 s0, s0
	s_cbranch_execz .LBB12_8
; %bb.7:
	s_clause 0x1
	flat_load_b64 v[4:5], v[2:3] offset:72
	flat_load_b64 v[34:35], v[2:3] offset:96
	v_mov_b64_e32 v[14:15], 0
.LBB12_8:
	s_wait_xcnt 0x0
	s_or_b32 exec_lo, exec_lo, s0
	flat_load_b128 v[10:13], v[2:3] offset:16
	v_and_b32_e32 v6, 0x44000000, v16
	v_bfe_u32 v23, v8, 1, 30
	s_mov_b32 s0, exec_lo
	s_delay_alu instid0(VALU_DEP_2) | instskip(NEXT) | instid1(VALU_DEP_1)
	v_cmp_eq_u32_e64 s7, 0x44000000, v6
	v_cndmask_b32_e64 v30, v1, 32, s7
	s_wait_xcnt 0x0
	s_delay_alu instid0(VALU_DEP_1)
	v_cmpx_ge_i32_e64 v0, v30
	s_xor_b32 s1, exec_lo, s0
	s_cbranch_execz .LBB12_38
; %bb.9:
	s_wait_loadcnt_dscnt 0x0
	v_cmp_ne_u64_e32 vcc_lo, v[12:13], v[10:11]
	v_cmp_eq_u32_e64 s0, v36, v23
	s_and_b32 s2, vcc_lo, s0
	s_delay_alu instid0(SALU_CYCLE_1)
	s_and_saveexec_b32 s0, s2
	s_cbranch_execz .LBB12_37
; %bb.10:
	v_sub_nc_u32_e32 v27, v0, v30
	v_add_nc_u64_e32 v[8:9], v[10:11], v[14:15]
	s_mov_b32 s2, 0
	s_mov_b32 s3, exec_lo
	s_delay_alu instid0(VALU_DEP_2) | instskip(NEXT) | instid1(VALU_DEP_1)
	v_ashrrev_i16 v0, 15, v27
	v_lshrrev_b16 v0, 11, v0
	s_delay_alu instid0(VALU_DEP_1) | instskip(NEXT) | instid1(VALU_DEP_1)
	v_add_nc_u16 v0, v27, v0
	v_and_b32_e32 v2, 0xffffffe0, v0
	s_delay_alu instid0(VALU_DEP_1) | instskip(SKIP_1) | instid1(VALU_DEP_2)
	v_sub_nc_u16 v16, v27, v2
	v_add_nc_u64_e32 v[2:3], v[12:13], v[14:15]
	v_cmpx_gt_i16_e32 1, v16
; %bb.11:
	s_delay_alu instid0(VALU_DEP_2) | instskip(NEXT) | instid1(VALU_DEP_1)
	v_bitop3_b32 v6, v2, 15, v8 bitop3:0xc8
	v_cmp_ne_u32_e32 vcc_lo, 0, v6
	s_and_b32 s2, vcc_lo, exec_lo
; %bb.12:
	s_or_b32 exec_lo, exec_lo, s3
	v_cndmask_b32_e64 v6, 0, 1, s2
	v_sub_nc_u32_e32 v26, v1, v30
	s_delay_alu instid0(VALU_DEP_2)
	v_cmp_ne_u32_e32 vcc_lo, 0, v6
	s_cbranch_vccz .LBB12_14
; %bb.13:
	v_mov_b64_e32 v[0:1], 0
	s_mov_b32 s3, -1
	s_delay_alu instid0(SALU_CYCLE_1)
	s_and_b32 exec_lo, exec_lo, s3
	s_cbranch_execnz .LBB12_29
	s_branch .LBB12_37
.LBB12_14:
	v_dual_ashrrev_i32 v1, 31, v5 :: v_dual_mov_b32 v7, 0
	v_ashrrev_i16 v17, 5, v0
	v_bfe_i32 v22, v16, 0, 16
	s_mov_b32 s3, 0
	s_mov_b32 s2, exec_lo
	s_delay_alu instid0(VALU_DEP_2) | instskip(NEXT) | instid1(VALU_DEP_1)
	v_bfe_i32 v18, v17, 0, 16
	v_dual_lshrrev_b32 v6, 20, v1 :: v_dual_ashrrev_i32 v19, 31, v18
	s_delay_alu instid0(VALU_DEP_1) | instskip(NEXT) | instid1(VALU_DEP_1)
	v_add_nc_u64_e32 v[0:1], v[4:5], v[6:7]
	v_ashrrev_i64 v[0:1], 12, v[0:1]
	s_delay_alu instid0(VALU_DEP_1) | instskip(NEXT) | instid1(VALU_DEP_1)
	v_sub_nc_u64_e32 v[6:7], v[0:1], v[18:19]
	v_cmpx_lt_i64_e32 0, v[6:7]
	s_cbranch_execz .LBB12_18
; %bb.15:
	v_ashrrev_i16 v16, 15, v26
	s_delay_alu instid0(VALU_DEP_1) | instskip(NEXT) | instid1(VALU_DEP_1)
	v_lshrrev_b16 v16, 11, v16
	v_add_nc_u16 v16, v26, v16
	s_delay_alu instid0(VALU_DEP_1) | instskip(NEXT) | instid1(VALU_DEP_1)
	v_ashrrev_i16 v16, 5, v16
	v_bfe_i32 v16, v16, 0, 16
	s_delay_alu instid0(VALU_DEP_1) | instskip(NEXT) | instid1(VALU_DEP_1)
	v_dual_lshlrev_b32 v17, 4, v22 :: v_dual_lshlrev_b32 v20, 12, v16
	v_lshl_add_u32 v18, v18, 12, v17
	v_ashrrev_i32_e32 v17, 31, v16
	s_delay_alu instid0(VALU_DEP_2)
	v_dual_ashrrev_i32 v21, 31, v20 :: v_dual_ashrrev_i32 v19, 31, v18
.LBB12_16:                              ; =>This Inner Loop Header: Depth=1
	s_delay_alu instid0(VALU_DEP_1) | instskip(NEXT) | instid1(VALU_DEP_3)
	v_add_nc_u64_e32 v[24:25], v[18:19], v[2:3]
	v_sub_nc_u64_e32 v[6:7], v[6:7], v[16:17]
	s_delay_alu instid0(VALU_DEP_3)
	v_add_nc_u64_e32 v[2:3], v[2:3], v[20:21]
	s_clause 0x7
	global_load_b128 v[28:31], v[24:25], off th:TH_LOAD_NT
	global_load_b128 v[32:35], v[24:25], off offset:512 th:TH_LOAD_NT
	global_load_b128 v[36:39], v[24:25], off offset:1024 th:TH_LOAD_NT
	;; [unrolled: 1-line block ×7, first 2 shown]
	v_cmp_gt_i64_e32 vcc_lo, 1, v[6:7]
	s_wait_xcnt 0x0
	v_add_nc_u64_e32 v[24:25], v[18:19], v[8:9]
	v_add_nc_u64_e32 v[8:9], v[8:9], v[20:21]
	s_wait_loadcnt 0x7
	global_store_b128 v[24:25], v[28:31], off th:TH_STORE_NT
	s_wait_loadcnt 0x6
	global_store_b128 v[24:25], v[32:35], off offset:512 th:TH_STORE_NT
	s_wait_loadcnt 0x5
	global_store_b128 v[24:25], v[36:39], off offset:1024 th:TH_STORE_NT
	;; [unrolled: 2-line block ×7, first 2 shown]
	s_or_b32 s3, vcc_lo, s3
	s_wait_xcnt 0x0
	s_and_not1_b32 exec_lo, exec_lo, s3
	s_cbranch_execnz .LBB12_16
; %bb.17:
	s_or_b32 exec_lo, exec_lo, s3
.LBB12_18:
	s_delay_alu instid0(SALU_CYCLE_1) | instskip(SKIP_4) | instid1(VALU_DEP_2)
	s_or_b32 exec_lo, exec_lo, s2
	v_lshlrev_b64_e32 v[8:9], 12, v[0:1]
	v_mov_b64_e32 v[0:1], 0
	s_mov_b32 s3, 0
	s_mov_b32 s2, exec_lo
                                        ; implicit-def: $vgpr2_vgpr3
                                        ; implicit-def: $vgpr27
	v_cmpx_ne_u64_e64 v[4:5], v[8:9]
	s_cbranch_execz .LBB12_28
; %bb.19:
	v_sub_nc_u64_e32 v[16:17], v[4:5], v[8:9]
	s_mov_b32 s3, exec_lo
	s_delay_alu instid0(VALU_DEP_1) | instskip(NEXT) | instid1(VALU_DEP_1)
	v_dual_mov_b32 v21, 0 :: v_dual_ashrrev_i32 v0, 31, v17
	v_lshrrev_b32_e32 v20, 23, v0
	s_delay_alu instid0(VALU_DEP_1) | instskip(NEXT) | instid1(VALU_DEP_1)
	v_add_nc_u64_e32 v[0:1], v[16:17], v[20:21]
	v_ashrrev_i64 v[18:19], 9, v[0:1]
	v_and_b32_e32 v0, 0xfffffe00, v0
	s_delay_alu instid0(VALU_DEP_1) | instskip(SKIP_1) | instid1(VALU_DEP_2)
	v_sub_nc_u64_e32 v[2:3], v[16:17], v[0:1]
	v_add_nc_u64_e32 v[0:1], v[0:1], v[8:9]
	v_cmpx_lt_i64_e32 15, v[2:3]
; %bb.20:
	v_and_b32_e32 v20, 15, v4
	v_add_nc_u64_e32 v[18:19], 1, v[18:19]
	s_delay_alu instid0(VALU_DEP_2) | instskip(NEXT) | instid1(VALU_DEP_1)
	v_sub_nc_u64_e32 v[2:3], v[2:3], v[20:21]
	v_add_nc_u64_e32 v[0:1], v[2:3], v[0:1]
	v_mov_b64_e32 v[2:3], v[20:21]
; %bb.21:
	s_or_b32 exec_lo, exec_lo, s3
	v_lshlrev_b32_e32 v4, 5, v6
	s_mov_b32 s3, exec_lo
	s_delay_alu instid0(VALU_DEP_1) | instskip(NEXT) | instid1(VALU_DEP_1)
	v_sub_nc_u32_e32 v4, v22, v4
	v_ashrrev_i32_e32 v5, 31, v4
	s_delay_alu instid0(VALU_DEP_1) | instskip(NEXT) | instid1(VALU_DEP_1)
	v_lshrrev_b32_e32 v5, 27, v5
	v_add_nc_u32_e32 v5, v4, v5
	s_delay_alu instid0(VALU_DEP_1) | instskip(NEXT) | instid1(VALU_DEP_1)
	v_and_b32_e32 v6, 0xffffffe0, v5
	v_dual_sub_nc_u32 v22, v4, v6 :: v_dual_ashrrev_i32 v4, 5, v5
	s_delay_alu instid0(VALU_DEP_1) | instskip(NEXT) | instid1(VALU_DEP_1)
	v_lshlrev_b32_e32 v5, 4, v22
	v_lshl_add_u32 v20, v4, 9, v5
	v_ashrrev_i32_e32 v5, 31, v4
	s_delay_alu instid0(VALU_DEP_2) | instskip(NEXT) | instid1(VALU_DEP_2)
	v_ashrrev_i32_e32 v21, 31, v20
	v_sub_nc_u64_e32 v[4:5], v[18:19], v[4:5]
	s_delay_alu instid0(VALU_DEP_2) | instskip(NEXT) | instid1(VALU_DEP_1)
	v_sub_nc_u64_e32 v[6:7], v[16:17], v[20:21]
	v_cmpx_lt_i64_e32 15, v[6:7]
	s_cbranch_execz .LBB12_25
; %bb.22:
	v_ashrrev_i16 v16, 15, v26
	v_add_nc_u64_e32 v[18:19], v[14:15], v[8:9]
	s_mov_b32 s4, 0
	s_delay_alu instid0(VALU_DEP_2) | instskip(NEXT) | instid1(VALU_DEP_2)
	v_lshrrev_b16 v16, 11, v16
	v_add_nc_u64_e32 v[18:19], v[18:19], v[20:21]
	s_delay_alu instid0(VALU_DEP_2) | instskip(NEXT) | instid1(VALU_DEP_1)
	v_add_nc_u16 v16, v26, v16
	v_ashrrev_i16 v16, 5, v16
	s_delay_alu instid0(VALU_DEP_1) | instskip(NEXT) | instid1(VALU_DEP_1)
	v_bfe_i32 v16, v16, 0, 16
	v_dual_lshlrev_b32 v8, 9, v16 :: v_dual_ashrrev_i32 v17, 31, v16
	s_delay_alu instid0(VALU_DEP_1)
	v_ashrrev_i32_e32 v9, 31, v8
.LBB12_23:                              ; =>This Inner Loop Header: Depth=1
	v_add_nc_u64_e32 v[20:21], v[12:13], v[18:19]
	s_delay_alu instid0(VALU_DEP_2) | instskip(NEXT) | instid1(VALU_DEP_4)
	v_sub_nc_u64_e32 v[6:7], v[6:7], v[8:9]
	v_sub_nc_u64_e32 v[4:5], v[4:5], v[16:17]
	global_load_b128 v[28:31], v[20:21], off th:TH_LOAD_NT
	v_cmp_gt_i64_e32 vcc_lo, 16, v[6:7]
	s_wait_xcnt 0x0
	v_add_nc_u64_e32 v[20:21], v[10:11], v[18:19]
	v_add_nc_u64_e32 v[18:19], v[18:19], v[8:9]
	s_or_b32 s4, vcc_lo, s4
	s_wait_loadcnt 0x0
	global_store_b128 v[20:21], v[28:31], off th:TH_STORE_NT
	s_wait_xcnt 0x0
	s_and_not1_b32 exec_lo, exec_lo, s4
	s_cbranch_execnz .LBB12_23
; %bb.24:
	s_or_b32 exec_lo, exec_lo, s4
.LBB12_25:
	s_delay_alu instid0(SALU_CYCLE_1) | instskip(NEXT) | instid1(SALU_CYCLE_1)
	s_or_b32 exec_lo, exec_lo, s3
	s_mov_b32 s3, exec_lo
	s_delay_alu instid0(VALU_DEP_3)
	v_cmpx_lt_i64_e32 0, v[4:5]
	s_cbranch_execz .LBB12_27
; %bb.26:
	v_ashrrev_i16 v6, 15, v26
	s_delay_alu instid0(VALU_DEP_1) | instskip(NEXT) | instid1(VALU_DEP_1)
	v_lshrrev_b16 v6, 11, v6
	v_add_nc_u16 v6, v26, v6
	s_delay_alu instid0(VALU_DEP_1) | instskip(NEXT) | instid1(VALU_DEP_1)
	v_ashrrev_i16 v6, 5, v6
	v_bfe_i32 v6, v6, 0, 16
	s_delay_alu instid0(VALU_DEP_1) | instskip(NEXT) | instid1(VALU_DEP_1)
	v_ashrrev_i32_e32 v7, 31, v6
	v_sub_nc_u64_e32 v[4:5], v[4:5], v[6:7]
.LBB12_27:
	s_or_b32 exec_lo, exec_lo, s3
	s_delay_alu instid0(VALU_DEP_1) | instskip(SKIP_1) | instid1(VALU_DEP_2)
	v_lshlrev_b32_e32 v4, 5, v4
	v_cmp_ne_u64_e32 vcc_lo, 0, v[2:3]
	v_sub_nc_u32_e32 v27, v22, v4
	s_and_b32 s3, vcc_lo, exec_lo
.LBB12_28:
	s_or_b32 exec_lo, exec_lo, s2
	v_mov_b64_e32 v[4:5], v[2:3]
	s_and_b32 exec_lo, exec_lo, s3
	s_cbranch_execz .LBB12_37
.LBB12_29:
	s_delay_alu instid0(VALU_DEP_1) | instskip(SKIP_1) | instid1(VALU_DEP_1)
	v_dual_ashrrev_i32 v2, 31, v27 :: v_dual_ashrrev_i32 v3, 31, v5
	s_mov_b32 s2, exec_lo
	v_dual_lshrrev_b32 v6, 27, v2 :: v_dual_lshrrev_b32 v2, 22, v3
	s_delay_alu instid0(VALU_DEP_1) | instskip(NEXT) | instid1(VALU_DEP_1)
	v_dual_mov_b32 v3, 0 :: v_dual_add_nc_u32 v16, v27, v6
	v_add_nc_u64_e32 v[6:7], v[4:5], v[2:3]
	s_delay_alu instid0(VALU_DEP_2) | instskip(NEXT) | instid1(VALU_DEP_2)
	v_ashrrev_i32_e32 v2, 5, v16
	v_ashrrev_i64 v[8:9], 10, v[6:7]
	s_delay_alu instid0(VALU_DEP_2) | instskip(NEXT) | instid1(VALU_DEP_1)
	v_ashrrev_i32_e32 v3, 31, v2
	v_sub_nc_u64_e32 v[6:7], v[8:9], v[2:3]
	s_delay_alu instid0(VALU_DEP_1)
	v_cmpx_lt_i64_e32 0, v[6:7]
	s_cbranch_execz .LBB12_33
; %bb.30:
	v_ashrrev_i16 v3, 15, v26
	v_and_b32_e32 v16, 0xffffffe0, v16
	v_add_nc_u64_e32 v[24:25], v[14:15], v[0:1]
	s_mov_b32 s3, 0
	s_delay_alu instid0(VALU_DEP_3) | instskip(NEXT) | instid1(VALU_DEP_3)
	v_lshrrev_b16 v3, 11, v3
	v_sub_nc_u32_e32 v17, v27, v16
	s_delay_alu instid0(VALU_DEP_3) | instskip(NEXT) | instid1(VALU_DEP_3)
	v_add_nc_u64_e32 v[22:23], v[24:25], v[12:13]
	v_add_nc_u16 v3, v26, v3
	v_add_nc_u64_e32 v[24:25], v[24:25], v[10:11]
	s_delay_alu instid0(VALU_DEP_2) | instskip(NEXT) | instid1(VALU_DEP_1)
	v_ashrrev_i16 v3, 5, v3
	v_bfe_i32 v16, v3, 0, 16
	s_delay_alu instid0(VALU_DEP_1) | instskip(SKIP_2) | instid1(VALU_DEP_2)
	v_lshlrev_b32_e32 v20, 10, v16
	v_lshl_add_u32 v18, v2, 10, v17
	v_ashrrev_i32_e32 v17, 31, v16
	v_dual_ashrrev_i32 v21, 31, v20 :: v_dual_ashrrev_i32 v19, 31, v18
.LBB12_31:                              ; =>This Inner Loop Header: Depth=1
	s_delay_alu instid0(VALU_DEP_1) | instskip(NEXT) | instid1(VALU_DEP_3)
	v_add_nc_u64_e32 v[28:29], v[18:19], v[22:23]
	v_sub_nc_u64_e32 v[6:7], v[6:7], v[16:17]
	s_delay_alu instid0(VALU_DEP_3)
	v_add_nc_u64_e32 v[22:23], v[22:23], v[20:21]
	s_clause 0x1f
	flat_load_u8 v3, v[28:29] th:TH_LOAD_NT
	flat_load_u8 v30, v[28:29] offset:32 th:TH_LOAD_NT
	flat_load_u8 v31, v[28:29] offset:64 th:TH_LOAD_NT
	;; [unrolled: 1-line block ×31, first 2 shown]
	v_cmp_gt_i64_e32 vcc_lo, 1, v[6:7]
	s_wait_xcnt 0x0
	v_add_nc_u64_e32 v[28:29], v[18:19], v[24:25]
	v_add_nc_u64_e32 v[24:25], v[24:25], v[20:21]
	s_wait_loadcnt_dscnt 0x1f1f
	flat_store_b8 v[28:29], v3 th:TH_STORE_NT
	s_wait_loadcnt_dscnt 0x1e1f
	flat_store_b8 v[28:29], v30 offset:32 th:TH_STORE_NT
	s_wait_loadcnt_dscnt 0x1d1f
	flat_store_b8 v[28:29], v31 offset:64 th:TH_STORE_NT
	;; [unrolled: 2-line block ×31, first 2 shown]
	s_or_b32 s3, vcc_lo, s3
	s_wait_xcnt 0x0
	s_and_not1_b32 exec_lo, exec_lo, s3
	s_cbranch_execnz .LBB12_31
; %bb.32:
	s_or_b32 exec_lo, exec_lo, s3
.LBB12_33:
	s_delay_alu instid0(SALU_CYCLE_1) | instskip(SKIP_1) | instid1(VALU_DEP_1)
	s_or_b32 exec_lo, exec_lo, s2
	v_lshlrev_b64_e32 v[8:9], 10, v[8:9]
	v_cmp_ne_u64_e32 vcc_lo, v[4:5], v[8:9]
	s_and_b32 exec_lo, exec_lo, vcc_lo
	s_cbranch_execz .LBB12_37
; %bb.34:
	v_lshlrev_b32_e32 v2, 5, v2
	v_lshlrev_b32_e32 v3, 5, v6
	s_delay_alu instid0(VALU_DEP_2) | instskip(NEXT) | instid1(VALU_DEP_1)
	v_sub_nc_u32_e32 v2, v27, v2
	v_sub_nc_u32_e32 v6, v2, v3
	s_delay_alu instid0(VALU_DEP_1) | instskip(NEXT) | instid1(VALU_DEP_1)
	v_ashrrev_i32_e32 v7, 31, v6
	v_add_nc_u64_e32 v[2:3], v[8:9], v[6:7]
	s_delay_alu instid0(VALU_DEP_1) | instskip(NEXT) | instid1(VALU_DEP_1)
	v_sub_nc_u64_e32 v[2:3], v[4:5], v[2:3]
	v_cmp_lt_i64_e32 vcc_lo, 0, v[2:3]
	s_and_b32 exec_lo, exec_lo, vcc_lo
	s_cbranch_execz .LBB12_37
; %bb.35:
	v_ashrrev_i16 v4, 15, v26
	v_add_nc_u64_e32 v[0:1], v[14:15], v[0:1]
	s_mov_b32 s2, 0
	s_delay_alu instid0(VALU_DEP_2) | instskip(NEXT) | instid1(VALU_DEP_1)
	v_lshrrev_b16 v4, 11, v4
	v_add_nc_u16 v4, v26, v4
	s_delay_alu instid0(VALU_DEP_1) | instskip(NEXT) | instid1(VALU_DEP_1)
	v_ashrrev_i16 v4, 5, v4
	v_bfe_i32 v14, v4, 0, 16
	v_add_nc_u64_e32 v[4:5], v[0:1], v[8:9]
	s_delay_alu instid0(VALU_DEP_2) | instskip(NEXT) | instid1(VALU_DEP_2)
	v_lshlrev_b32_e32 v0, 5, v14
	v_add_nc_u64_e32 v[4:5], v[4:5], v[6:7]
	s_delay_alu instid0(VALU_DEP_2)
	v_ashrrev_i32_e32 v1, 31, v0
.LBB12_36:                              ; =>This Inner Loop Header: Depth=1
	s_delay_alu instid0(VALU_DEP_2) | instskip(NEXT) | instid1(VALU_DEP_2)
	v_add_nc_u64_e32 v[6:7], v[12:13], v[4:5]
	v_sub_nc_u64_e32 v[2:3], v[2:3], v[0:1]
	flat_load_u8 v8, v[6:7] th:TH_LOAD_NT
	v_cmp_gt_i64_e32 vcc_lo, 1, v[2:3]
	s_wait_xcnt 0x0
	v_add_nc_u64_e32 v[6:7], v[10:11], v[4:5]
	v_add_nc_u64_e32 v[4:5], v[4:5], v[0:1]
	s_or_b32 s2, vcc_lo, s2
	s_wait_loadcnt_dscnt 0x0
	flat_store_b8 v[6:7], v8 th:TH_STORE_NT
	s_wait_xcnt 0x0
	s_and_not1_b32 exec_lo, exec_lo, s2
	s_cbranch_execnz .LBB12_36
.LBB12_37:
	s_or_b32 exec_lo, exec_lo, s0
                                        ; implicit-def: $vgpr36_vgpr37
                                        ; implicit-def: $vgpr14_vgpr15
                                        ; implicit-def: $vgpr4_vgpr5
                                        ; implicit-def: $vgpr34_vgpr35
                                        ; implicit-def: $vgpr23
                                        ; implicit-def: $vgpr30
                                        ; implicit-def: $vgpr0
                                        ; implicit-def: $vgpr31
                                        ; implicit-def: $vgpr12_vgpr13
                                        ; implicit-def: $vgpr8_vgpr9
                                        ; implicit-def: $vgpr2_vgpr3
.LBB12_38:
	s_and_not1_saveexec_b32 s22, s1
	s_cbranch_execz .LBB12_1037
; %bb.39:
	s_trap 2
	ds_load_b64 v[6:7], v0
	s_mov_b32 s1, 0
	s_mov_b32 s2, exec_lo
	s_wait_dscnt 0x0
	v_cmp_ne_u32_e32 vcc_lo, -1, v6
	v_cndmask_b32_e64 v71, 0, 1, vcc_lo
	v_cmp_ne_u32_e32 vcc_lo, -1, v7
	s_delay_alu instid0(VALU_DEP_2) | instskip(NEXT) | instid1(VALU_DEP_1)
	v_add_co_ci_u32_e64 v6, null, 0, v71, vcc_lo
	v_lshlrev_b32_e32 v1, 1, v6
	s_delay_alu instid0(VALU_DEP_1)
	v_cmpx_le_u32_e64 v1, v30
	s_xor_b32 s23, exec_lo, s2
	s_cbranch_execz .LBB12_1034
; %bb.40:
	flat_load_b64 v[26:27], v[2:3] offset:104
	s_trap 2
	s_load_b32 s0, s[8:9], 0x0
	s_bfe_u32 s2, ttmp6, 0x4000c
	s_and_b32 s3, ttmp6, 15
	s_add_co_i32 s2, s2, 1
	s_getreg_b32 s4, hwreg(HW_REG_IB_STS2, 6, 4)
	s_mul_i32 s2, ttmp9, s2
	v_dual_mov_b32 v1, 0 :: v_dual_mov_b32 v116, 4
	s_add_co_i32 s3, s3, s2
	s_cmp_eq_u32 s4, 0
	ds_load_b32 v7, v0
	s_cselect_b32 s2, ttmp9, s3
	s_wait_kmcnt 0x0
	s_cmp_lt_u32 s2, s0
	s_cselect_b32 s0, 12, 18
	s_delay_alu instid0(SALU_CYCLE_1)
	s_add_nc_u64 s[0:1], s[8:9], s[0:1]
	global_load_u16 v1, v1, s[0:1]
	s_wait_xcnt 0x0
	s_mov_b32 s1, exec_lo
	s_wait_dscnt 0x0
	v_readfirstlane_b32 s10, v7
	v_cmpx_ge_i32_e64 v0, v71
	s_cbranch_execz .LBB12_50
; %bb.41:
	v_cmp_ge_u32_e64 s0, v0, v6
                                        ; implicit-def: $vgpr116
	s_and_saveexec_b32 s2, s0
	s_delay_alu instid0(SALU_CYCLE_1)
	s_xor_b32 s0, exec_lo, s2
	s_cbranch_execz .LBB12_47
; %bb.42:
	v_cndmask_b32_e64 v7, 0, 1, vcc_lo
	s_mov_b32 s2, exec_lo
	s_delay_alu instid0(VALU_DEP_1) | instskip(NEXT) | instid1(VALU_DEP_1)
	v_sub_nc_u32_e32 v7, v30, v7
	v_cmpx_ge_u32_e64 v0, v7
	s_xor_b32 s2, exec_lo, s2
; %bb.43:
                                        ; implicit-def: $vgpr6
; %bb.44:
	s_delay_alu instid0(SALU_CYCLE_1)
	s_or_saveexec_b32 s2, s2
	v_mov_b32_e32 v116, 16
	s_xor_b32 exec_lo, exec_lo, s2
; %bb.45:
	v_sub_nc_u32_e32 v6, v30, v6
	s_delay_alu instid0(VALU_DEP_1)
	v_cmp_lt_i32_e32 vcc_lo, v0, v6
	v_cndmask_b32_e64 v116, 32, 0, vcc_lo
; %bb.46:
	s_or_b32 exec_lo, exec_lo, s2
.LBB12_47:
	s_and_not1_saveexec_b32 s0, s0
; %bb.48:
	v_mov_b32_e32 v116, 8
; %bb.49:
	s_or_b32 exec_lo, exec_lo, s0
.LBB12_50:
	s_delay_alu instid0(SALU_CYCLE_1) | instskip(SKIP_1) | instid1(VALU_DEP_1)
	s_or_b32 exec_lo, exec_lo, s1
	s_wait_loadcnt 0x3
	v_dual_mov_b32 v35, -1 :: v_dual_bitop2_b32 v6, 36, v116 bitop3:0x40
	s_delay_alu instid0(VALU_DEP_1)
	v_cmp_ne_u32_e32 vcc_lo, 0, v6
	s_and_saveexec_b32 s0, vcc_lo
	s_cbranch_execz .LBB12_52
; %bb.51:
	s_trap 2
	ds_load_b32 v35, v0
.LBB12_52:
	s_or_b32 exec_lo, exec_lo, s0
	v_and_b32_e32 v6, 24, v116
	s_mov_b32 s1, exec_lo
	s_delay_alu instid0(VALU_DEP_1)
	v_cmpx_ne_u32_e32 0, v6
	s_cbranch_execz .LBB12_54
; %bb.53:
	s_trap 2
	s_wait_dscnt 0x0
	ds_load_b32 v35, v0
.LBB12_54:
	s_or_b32 exec_lo, exec_lo, s1
	v_lshrrev_b64 v[8:9], 31, v[8:9]
	v_mov_b64_e32 v[18:19], 0
	v_mov_b64_e32 v[6:7], 0
                                        ; implicit-def: $vgpr16_vgpr17
                                        ; implicit-def: $vgpr22
                                        ; implicit-def: $vgpr24_vgpr25
                                        ; implicit-def: $vgpr32_vgpr33
                                        ; implicit-def: $vgpr20_vgpr21
	s_delay_alu instid0(VALU_DEP_3)
	v_and_b32_e32 v38, 3, v8
	s_and_saveexec_b32 s0, vcc_lo
	s_cbranch_execz .LBB12_64
; %bb.55:
	s_trap 2
	ds_load_b64 v[6:7], v0
	v_and_b32_e32 v8, 0xffff, v38
	s_mov_b32 s1, exec_lo
                                        ; implicit-def: $vgpr16_vgpr17
	s_wait_dscnt 0x0
	v_readfirstlane_b32 s2, v6
	v_readfirstlane_b32 s3, v7
	flat_load_b64 v[6:7], v35, s[2:3] scale_offset
	s_wait_loadcnt_dscnt 0x0
	v_mad_nc_u64_u32 v[28:29], 0xa8, v8, v[6:7]
	flat_load_b32 v6, v[28:29] offset:640
	s_wait_loadcnt_dscnt 0x0
	v_cmpx_eq_u32_e32 1, v6
	s_cbranch_execz .LBB12_57
; %bb.56:
	flat_load_b64 v[16:17], v[28:29] offset:648
	v_or_b32_e32 v116, 0x2000, v116
	s_wait_loadcnt_dscnt 0x0
	flat_load_b64 v[6:7], v[16:17]
	s_trap 2
	s_wait_loadcnt_dscnt 0x0
	ds_store_b64 v0, v[6:7]
	flat_load_b64 v[6:7], v[16:17] offset:8
	s_wait_loadcnt_dscnt 0x0
	ds_store_b64 v0, v[6:7]
	flat_load_b64 v[6:7], v[16:17] offset:16
	s_wait_loadcnt_dscnt 0x0
	ds_store_b64 v0, v[6:7]
.LBB12_57:
	s_wait_xcnt 0x0
	s_or_b32 exec_lo, exec_lo, s1
	flat_load_b64 v[8:9], v[28:29] offset:608
	v_and_b32_e32 v6, 32, v116
	s_mov_b32 s1, exec_lo
                                        ; implicit-def: $vgpr20_vgpr21
	s_wait_xcnt 0x0
	s_delay_alu instid0(VALU_DEP_1)
	v_cmpx_ne_u32_e32 0, v6
	s_cbranch_execz .LBB12_59
; %bb.58:
	flat_load_b64 v[20:21], v[28:29] offset:560
	global_wb scope:SCOPE_SYS
	s_wait_storecnt 0x0
	s_wait_xcnt 0x0
	s_wait_loadcnt_dscnt 0x0
	flat_store_b64 v[20:21], v[8:9] scope:SCOPE_SYS
.LBB12_59:
	s_wait_xcnt 0x0
	s_or_b32 exec_lo, exec_lo, s1
	v_and_b32_e32 v22, 4, v116
	v_add_nc_u64_e32 v[18:19], 0x1f8, v[28:29]
	v_mov_b64_e32 v[6:7], 0
                                        ; implicit-def: $vgpr24_vgpr25
                                        ; implicit-def: $vgpr32_vgpr33
	s_delay_alu instid0(VALU_DEP_3)
	v_cmp_ne_u32_e32 vcc_lo, 0, v22
                                        ; implicit-def: $vgpr22
	s_and_saveexec_b32 s1, vcc_lo
	s_cbranch_execz .LBB12_63
; %bb.60:
	v_and_b32_e32 v6, 0x800, v116
	s_mov_b32 s2, exec_lo
	s_delay_alu instid0(VALU_DEP_1)
	v_cmpx_eq_u32_e32 0, v6
	s_cbranch_execz .LBB12_62
; %bb.61:
	s_trap 2
	ds_store_b64 v0, v[18:19]
.LBB12_62:
	s_or_b32 exec_lo, exec_lo, s2
	flat_load_b64 v[20:21], v[28:29] offset:552
	s_wait_loadcnt_dscnt 0x0
	flat_load_b64 v[32:33], v[20:21] scope:SCOPE_SYS
	s_clause 0x2
	flat_load_b64 v[6:7], v[28:29] offset:600
	flat_load_b32 v22, v[28:29] offset:576
	flat_load_b64 v[24:25], v[28:29] offset:520
	s_wait_xcnt 0x0
	v_or_b32_e32 v28, 0x100, v116
	s_wait_loadcnt_dscnt 0x202
	v_cmp_eq_u64_e32 vcc_lo, 0, v[6:7]
	s_delay_alu instid0(VALU_DEP_2)
	v_cndmask_b32_e32 v116, v28, v116, vcc_lo
.LBB12_63:
	s_or_b32 exec_lo, exec_lo, s1
.LBB12_64:
	s_delay_alu instid0(SALU_CYCLE_1) | instskip(NEXT) | instid1(VALU_DEP_1)
	s_or_b32 exec_lo, exec_lo, s0
	v_and_b32_e32 v28, 24, v116
	s_delay_alu instid0(VALU_DEP_1)
	v_cmp_ne_u32_e32 vcc_lo, 0, v28
                                        ; implicit-def: $vgpr28_vgpr29
	s_and_saveexec_b32 s0, vcc_lo
	s_cbranch_execz .LBB12_72
; %bb.65:
	s_trap 2
	ds_load_b64 v[6:7], v0
	s_wait_loadcnt_dscnt 0x1
	v_and_b32_e32 v8, 0xffff, v38
	v_or_b32_e32 v28, 0x100, v116
	s_wait_dscnt 0x0
	v_readfirstlane_b32 s2, v6
	v_readfirstlane_b32 s3, v7
	flat_load_b64 v[6:7], v35, s[2:3] scale_offset
	s_wait_loadcnt_dscnt 0x0
	v_mad_nc_u64_u32 v[18:19], 0xa8, v8, v[6:7]
	flat_load_b128 v[6:9], v[18:19] offset:96
	s_wait_loadcnt_dscnt 0x0
	v_cmp_eq_u64_e32 vcc_lo, 0, v[6:7]
	v_cndmask_b32_e32 v116, v28, v116, vcc_lo
	s_delay_alu instid0(VALU_DEP_1) | instskip(NEXT) | instid1(VALU_DEP_1)
	v_and_b32_e32 v28, 16, v116
	v_cmp_ne_u32_e32 vcc_lo, 0, v28
                                        ; implicit-def: $vgpr28_vgpr29
	s_wait_xcnt 0x0
	s_and_saveexec_b32 s1, vcc_lo
	s_cbranch_execz .LBB12_67
; %bb.66:
	s_clause 0x2
	flat_load_b64 v[20:21], v[18:19] offset:48
	flat_load_b64 v[28:29], v[18:19] offset:120
	;; [unrolled: 1-line block ×3, first 2 shown]
.LBB12_67:
	s_wait_xcnt 0x0
	s_or_b32 exec_lo, exec_lo, s1
	v_and_b32_e32 v35, 8, v116
	s_mov_b32 s1, exec_lo
	s_delay_alu instid0(VALU_DEP_1)
	v_cmpx_ne_u32_e32 0, v35
	s_cbranch_execz .LBB12_71
; %bb.68:
	s_wait_loadcnt_dscnt 0x202
	v_and_b32_e32 v20, 0x800, v116
	s_mov_b32 s2, exec_lo
	s_delay_alu instid0(VALU_DEP_1)
	v_cmpx_eq_u32_e32 0, v20
	s_cbranch_execz .LBB12_70
; %bb.69:
	s_trap 2
	ds_store_b64 v0, v[18:19]
.LBB12_70:
	s_or_b32 exec_lo, exec_lo, s2
	flat_load_b64 v[20:21], v[18:19] offset:56
	s_wait_loadcnt_dscnt 0x0
	flat_load_b64 v[32:33], v[20:21] scope:SCOPE_SYS
	s_clause 0x1
	flat_load_b32 v22, v[18:19] offset:72
	flat_load_b64 v[24:25], v[18:19] offset:16
.LBB12_71:
	s_wait_xcnt 0x0
	s_or_b32 exec_lo, exec_lo, s1
.LBB12_72:
	s_delay_alu instid0(SALU_CYCLE_1)
	s_or_b32 exec_lo, exec_lo, s0
	v_cmp_eq_u32_e64 s0, 0, v0
	s_and_saveexec_b32 s1, s0
	s_cbranch_execz .LBB12_74
; %bb.73:
	flat_load_b64 v[38:39], v[2:3] offset:32
	s_wait_loadcnt 0x3
	v_dual_mov_b32 v48, v12 :: v_dual_mov_b32 v49, v13
	v_dual_mov_b32 v50, v10 :: v_dual_mov_b32 v51, v11
	ds_store_2addr_b64 v0, v[48:49], v[50:51] offset1:1
	s_trap 2
	s_wait_loadcnt_dscnt 0x1
	ds_store_b64 v0, v[38:39]
	ds_store_b64 v0, v[26:27]
.LBB12_74:
	s_wait_xcnt 0x0
	s_or_b32 exec_lo, exec_lo, s1
	s_wait_loadcnt 0x1
	v_mov_b64_e32 v[26:27], 0
	s_wait_loadcnt 0x0
	v_and_b32_e32 v117, 0xffff, v1
	s_mov_b32 s24, exec_lo
	s_trap 2
	v_cmpx_ne_u64_e32 0, v[4:5]
	s_cbranch_execz .LBB12_1000
; %bb.75:
	flat_load_b32 v82, v[2:3] offset:4
	v_cvt_f64_u32_e32 v[26:27], 0
	s_wait_dscnt 0x1
	v_dual_lshlrev_b32 v1, 9, v34 :: v_dual_mov_b32 v35, 0
	v_cmp_ne_u32_e64 s1, v36, v23
	v_cmp_ne_u32_e64 s2, v37, v23
	v_dual_lshrrev_b32 v36, 5, v30 :: v_dual_ashrrev_i32 v37, 31, v0
	s_wait_xcnt 0x0
	v_and_b32_e32 v2, 0x3ffffe00, v1
	v_cmp_ne_u64_e64 s14, v[12:13], v[10:11]
	v_mov_b32_e32 v3, v35
	v_and_b32_e32 v1, 0x1fe0, v30
	v_lshrrev_b32_e32 v10, 27, v37
	v_cvt_f64_u32_e32 v[52:53], v2
	v_dual_mov_b32 v51, v35 :: v_dual_lshlrev_b32 v40, 9, v36
	s_delay_alu instid0(VALU_DEP_4)
	v_subrev_nc_u32_e32 v64, 32, v1
	v_mov_b32_e32 v67, v35
	s_ashr_i32 s11, s10, 31
	v_dual_ashrrev_i32 v23, 31, v22 :: v_dual_bitop2_b32 v34, 31, v31 bitop3:0x40
	v_add_nc_u32_e32 v68, 0xfffffe00, v40
	v_ashrrev_i32_e32 v65, 31, v64
	s_xor_b32 s15, s7, -1
	s_lshr_b32 s7, s11, 24
	v_cmp_eq_u32_e32 vcc_lo, 32, v30
	v_mov_b64_e32 v[38:39], 0
	v_cmp_eq_u64_e64 s5, 0, v[28:29]
	v_cmp_ne_u64_e64 s6, 0, v[28:29]
	v_mov_b64_e32 v[48:49], 0
	s_add_co_i32 s10, s10, s7
	v_cmp_ne_u32_e64 s3, 32, v30
	v_cmp_ne_u32_e64 s4, v30, v117
	v_ldexp_f64 v[54:55], v[26:27], 32
	v_mov_b64_e32 v[26:27], 0
	v_dual_mov_b32 v118, 1 :: v_dual_mov_b32 v119, 0x88
	v_cmp_eq_u32_e64 s7, 0, v34
	v_dual_mov_b32 v37, v35 :: v_dual_lshlrev_b32 v50, 11, v36
	s_ashr_i32 s26, s10, 8
	s_mov_b32 s25, 0
	s_and_b32 s27, s15, s14
	s_xor_b32 s29, vcc_lo, -1
	s_trap 2
	v_dual_add_nc_u32 v10, v0, v10 :: v_dual_lshlrev_b32 v66, 12, v36
	s_delay_alu instid0(VALU_DEP_1) | instskip(SKIP_1) | instid1(VALU_DEP_1)
	v_ashrrev_i32_e32 v41, 5, v10
	v_and_b32_e32 v11, 0xffffffe0, v10
	v_dual_lshlrev_b32 v10, 11, v41 :: v_dual_sub_nc_u32 v42, v0, v11
	s_delay_alu instid0(VALU_DEP_1)
	v_lshl_add_u32 v70, v42, 4, v10
	v_ashrrev_i32_e32 v69, 31, v68
	v_cmp_lt_i32_e64 s10, v42, v71
	v_cmp_le_i32_e64 s11, v42, v71
	v_add_f64_e32 v[52:53], v[54:55], v[52:53]
	v_dual_mov_b32 v55, v35 :: v_dual_lshlrev_b32 v54, 10, v36
	v_cmp_gt_i32_e64 s13, 1, v42
	v_add_nc_u32_e32 v84, v70, v10
	s_delay_alu instid0(VALU_DEP_1) | instskip(SKIP_4) | instid1(VALU_DEP_3)
	v_dual_ashrrev_i32 v71, 31, v70 :: v_dual_ashrrev_i32 v85, 31, v84
	s_wait_loadcnt_dscnt 0x0
	v_and_b32_e32 v11, 1, v82
	v_add_nc_u64_e32 v[80:81], 32, v[64:65]
	v_add_nc_u64_e32 v[82:83], 0x200, v[68:69]
	v_cmp_eq_u32_e64 s12, 1, v11
	s_xor_b32 s28, s12, -1
	s_branch .LBB12_77
.LBB12_76:                              ;   in Loop: Header=BB12_77 Depth=1
	s_wait_xcnt 0x0
	s_or_b32 exec_lo, exec_lo, s14
	v_add_nc_u64_e32 v[48:49], v[48:49], v[2:3]
	s_delay_alu instid0(VALU_DEP_1) | instskip(SKIP_1) | instid1(SALU_CYCLE_1)
	v_cmp_ge_u64_e32 vcc_lo, v[48:49], v[4:5]
	s_or_b32 s25, vcc_lo, s25
	s_and_not1_b32 exec_lo, exec_lo, s25
	s_cbranch_execz .LBB12_999
.LBB12_77:                              ; =>This Loop Header: Depth=1
                                        ;     Child Loop BB12_96 Depth 2
                                        ;     Child Loop BB12_131 Depth 2
	;; [unrolled: 1-line block ×5, first 2 shown]
                                        ;       Child Loop BB12_220 Depth 3
                                        ;     Child Loop BB12_230 Depth 2
                                        ;     Child Loop BB12_235 Depth 2
                                        ;       Child Loop BB12_236 Depth 3
                                        ;     Child Loop BB12_247 Depth 2
                                        ;     Child Loop BB12_252 Depth 2
	;; [unrolled: 1-line block ×26, first 2 shown]
                                        ;       Child Loop BB12_308 Depth 3
                                        ;     Child Loop BB12_318 Depth 2
                                        ;     Child Loop BB12_323 Depth 2
                                        ;       Child Loop BB12_324 Depth 3
                                        ;     Child Loop BB12_335 Depth 2
                                        ;     Child Loop BB12_340 Depth 2
	;; [unrolled: 1-line block ×21, first 2 shown]
	v_sub_nc_u64_e32 v[10:11], v[4:5], v[48:49]
	v_max_num_f64_e32 v[86:87], v[52:53], v[52:53]
	s_mov_b32 s40, 0
	s_delay_alu instid0(VALU_DEP_2) | instskip(NEXT) | instid1(VALU_DEP_3)
	v_cvt_f64_u32_e32 v[12:13], v11
	v_cvt_f64_u32_e32 v[10:11], v10
	s_delay_alu instid0(VALU_DEP_2) | instskip(NEXT) | instid1(VALU_DEP_1)
	v_ldexp_f64 v[12:13], v[12:13], 32
	v_add_f64_e32 v[10:11], v[12:13], v[10:11]
	s_delay_alu instid0(VALU_DEP_1) | instskip(NEXT) | instid1(VALU_DEP_1)
	v_min_num_f64_e32 v[10:11], v[86:87], v[10:11]
	v_cvt_i32_f64_e32 v12, v[10:11]
	s_delay_alu instid0(VALU_DEP_1) | instskip(SKIP_2) | instid1(VALU_DEP_3)
	v_max_i32_e32 v43, 0, v12
	v_cmp_gt_i32_e64 s14, 1, v12
	v_cmp_lt_i32_e64 s15, 0, v12
	v_add_nc_u32_e32 v10, 15, v43
	s_delay_alu instid0(VALU_DEP_1) | instskip(NEXT) | instid1(VALU_DEP_1)
	v_ashrrev_i32_e32 v11, 31, v10
	v_lshrrev_b32_e32 v11, 28, v11
	s_delay_alu instid0(VALU_DEP_1) | instskip(NEXT) | instid1(VALU_DEP_1)
	v_add_nc_u32_e32 v10, v10, v11
	v_and_b32_e32 v13, -16, v10
	v_add_nc_u64_e32 v[10:11], v[48:49], v[14:15]
	s_delay_alu instid0(VALU_DEP_2) | instskip(SKIP_1) | instid1(SALU_CYCLE_1)
	v_max_i32_e32 v86, s26, v13
	s_and_saveexec_b32 s16, s1
	s_xor_b32 s41, exec_lo, s16
	s_cbranch_execz .LBB12_85
; %bb.78:                               ;   in Loop: Header=BB12_77 Depth=1
	s_mov_b32 s17, 0
	s_and_saveexec_b32 s16, s2
	s_delay_alu instid0(SALU_CYCLE_1)
	s_xor_b32 s40, exec_lo, s16
	s_cbranch_execz .LBB12_566
; %bb.79:                               ;   in Loop: Header=BB12_77 Depth=1
	v_mov_b32_e32 v12, 0
	s_and_saveexec_b32 s42, s15
	s_cbranch_execz .LBB12_423
; %bb.80:                               ;   in Loop: Header=BB12_77 Depth=1
	s_and_saveexec_b32 s16, s0
	s_cbranch_execz .LBB12_82
; %bb.81:                               ;   in Loop: Header=BB12_77 Depth=1
	s_trap 2
	ds_load_b128 v[96:99], v0
	s_wait_dscnt 0x0
	v_add_nc_u64_e32 v[12:13], v[98:99], v[10:11]
	v_cmp_ne_u64_e32 vcc_lo, 0, v[98:99]
	v_add_nc_u64_e32 v[10:11], v[96:97], v[10:11]
	s_delay_alu instid0(VALU_DEP_3)
	v_dual_cndmask_b32 v13, 0, v13 :: v_dual_cndmask_b32 v12, 0, v12
	ds_store_b64 v0, v[10:11]
	ds_store_b64 v0, v[12:13]
.LBB12_82:                              ;   in Loop: Header=BB12_77 Depth=1
	s_or_b32 exec_lo, exec_lo, s16
	v_and_b32_e32 v10, 12, v116
	v_min_i32_e32 v86, v86, v43
	s_mov_b32 s17, exec_lo
	s_delay_alu instid0(VALU_DEP_2)
	v_cmpx_ne_u32_e32 0, v10
	s_cbranch_execz .LBB12_123
; %bb.83:                               ;   in Loop: Header=BB12_77 Depth=1
	v_and_b32_e32 v34, 8, v116
	v_add_nc_u64_e32 v[10:11], 1, v[8:9]
	s_mov_b32 s18, exec_lo
	s_wait_loadcnt_dscnt 0x1
	s_delay_alu instid0(VALU_DEP_2) | instskip(NEXT) | instid1(VALU_DEP_1)
	v_add_nc_u64_e32 v[12:13], v[32:33], v[34:35]
	v_cmpx_lt_u64_e64 v[12:13], v[10:11]
	s_cbranch_execz .LBB12_110
; %bb.84:                               ;   in Loop: Header=BB12_77 Depth=1
	v_and_b32_e32 v9, 64, v116
	s_mov_b32 s19, 0
	s_mov_b32 s44, 0
                                        ; implicit-def: $sgpr20
                                        ; implicit-def: $sgpr21
                                        ; implicit-def: $sgpr43
	s_delay_alu instid0(VALU_DEP_1)
	v_cmp_eq_u32_e32 vcc_lo, 0, v9
	s_branch .LBB12_96
.LBB12_85:                              ;   in Loop: Header=BB12_77 Depth=1
	s_and_not1_saveexec_b32 s41, s41
	s_cbranch_execz .LBB12_997
.LBB12_86:                              ;   in Loop: Header=BB12_77 Depth=1
	s_mov_b32 s17, 0
	s_mov_b32 s16, s40
	s_and_saveexec_b32 s18, s27
	s_delay_alu instid0(SALU_CYCLE_1)
	s_xor_b32 s42, exec_lo, s18
	s_cbranch_execz .LBB12_615
; %bb.87:                               ;   in Loop: Header=BB12_77 Depth=1
	v_mov_b32_e32 v12, 0
	s_and_saveexec_b32 s43, s15
	s_cbranch_execz .LBB12_478
; %bb.88:                               ;   in Loop: Header=BB12_77 Depth=1
	s_and_saveexec_b32 s16, s0
	s_cbranch_execz .LBB12_90
; %bb.89:                               ;   in Loop: Header=BB12_77 Depth=1
	s_trap 2
	ds_load_b64 v[12:13], v0
	ds_load_2addr_b64 v[96:99], v0 offset1:1
	s_wait_dscnt 0x1
	v_add_nc_u64_e32 v[100:101], v[12:13], v[10:11]
	v_cmp_ne_u64_e32 vcc_lo, 0, v[12:13]
	s_wait_dscnt 0x0
	v_add_nc_u64_e32 v[12:13], v[96:97], v[10:11]
	v_add_nc_u64_e32 v[10:11], v[98:99], v[10:11]
	s_delay_alu instid0(VALU_DEP_4)
	v_dual_cndmask_b32 v97, 0, v101 :: v_dual_cndmask_b32 v96, 0, v100
	ds_store_b64 v0, v[12:13]
	ds_store_b64 v0, v[10:11]
	;; [unrolled: 1-line block ×3, first 2 shown]
.LBB12_90:                              ;   in Loop: Header=BB12_77 Depth=1
	s_or_b32 exec_lo, exec_lo, s16
	v_and_b32_e32 v10, 8, v116
	v_min_i32_e32 v86, v86, v43
	s_mov_b32 s17, exec_lo
	s_delay_alu instid0(VALU_DEP_2)
	v_cmpx_ne_u32_e32 0, v10
	s_cbranch_execz .LBB12_147
; %bb.91:                               ;   in Loop: Header=BB12_77 Depth=1
	s_wait_loadcnt_dscnt 0x1
	v_add_nc_u64_e32 v[12:13], 8, v[32:33]
	v_add_nc_u64_e32 v[10:11], 1, v[8:9]
	s_mov_b32 s18, exec_lo
	s_delay_alu instid0(VALU_DEP_1)
	v_cmpx_lt_u64_e64 v[12:13], v[10:11]
	s_cbranch_execz .LBB12_138
; %bb.92:                               ;   in Loop: Header=BB12_77 Depth=1
	v_and_b32_e32 v9, 64, v116
	s_mov_b32 s19, 0
	s_mov_b32 s45, 0
                                        ; implicit-def: $sgpr20
                                        ; implicit-def: $sgpr21
                                        ; implicit-def: $sgpr44
	s_delay_alu instid0(VALU_DEP_1)
	v_cmp_eq_u32_e32 vcc_lo, 0, v9
	s_branch .LBB12_103
.LBB12_93:                              ;   in Loop: Header=BB12_96 Depth=2
	s_wait_loadcnt_dscnt 0x0
	v_add_nc_u64_e32 v[12:13], v[32:33], v[34:35]
	s_or_b32 s47, s47, exec_lo
	s_delay_alu instid0(VALU_DEP_1)
	v_cmp_ge_u64_e64 s16, v[12:13], v[10:11]
	s_or_not1_b32 s46, s16, exec_lo
.LBB12_94:                              ;   in Loop: Header=BB12_96 Depth=2
	s_or_b32 exec_lo, exec_lo, s57
	s_delay_alu instid0(SALU_CYCLE_1)
	s_and_not1_b32 s16, s43, exec_lo
	s_and_b32 s43, s47, exec_lo
	s_and_not1_b32 s21, s21, exec_lo
	s_and_b32 s46, s46, exec_lo
	s_or_b32 s43, s16, s43
	s_or_b32 s21, s21, s46
.LBB12_95:                              ;   in Loop: Header=BB12_96 Depth=2
	s_or_b32 exec_lo, exec_lo, s45
	s_delay_alu instid0(SALU_CYCLE_1) | instskip(NEXT) | instid1(SALU_CYCLE_1)
	s_and_b32 s16, exec_lo, s21
	s_or_b32 s19, s16, s19
	s_and_not1_b32 s16, s20, exec_lo
	s_and_b32 s20, s43, exec_lo
	s_delay_alu instid0(SALU_CYCLE_1)
	s_or_b32 s20, s16, s20
	s_and_not1_b32 exec_lo, exec_lo, s19
	s_cbranch_execz .LBB12_107
.LBB12_96:                              ;   Parent Loop BB12_77 Depth=1
                                        ; =>  This Inner Loop Header: Depth=2
	s_sleep 1
	s_wait_loadcnt_dscnt 0x0
	flat_load_b64 v[32:33], v[20:21] scope:SCOPE_SYS
	s_or_b32 s43, s43, exec_lo
	s_or_b32 s21, s21, exec_lo
                                        ; implicit-def: $vgpr9
	s_wait_xcnt 0x0
	s_and_saveexec_b32 s45, vcc_lo
	s_cbranch_execz .LBB12_95
; %bb.97:                               ;   in Loop: Header=BB12_96 Depth=2
	s_cmp_lt_i32 s44, 0x270f
	s_mov_b32 s46, -1
	s_cselect_b32 s56, -1, 0
	s_cmp_gt_i32 s44, 0x270e
	s_cbranch_scc0 .LBB12_99
; %bb.98:                               ;   in Loop: Header=BB12_96 Depth=2
	s_trap 2
	ds_load_b64 v[12:13], v0
	s_and_not1_b32 s44, s56, exec_lo
	s_mov_b32 s47, 0
	s_wait_storecnt 0x0
	s_wait_loadcnt_dscnt 0x0
	flat_load_b32 v9, v[12:13] scope:SCOPE_SYS
	s_wait_loadcnt_dscnt 0x0
	global_inv scope:SCOPE_SYS
	v_cmp_eq_u32_e64 s16, 0, v9
	s_and_b32 s16, s16, exec_lo
	s_delay_alu instid0(SALU_CYCLE_1)
	s_or_b32 s56, s44, s16
	s_mov_b32 s44, 0
	s_and_saveexec_b32 s57, s56
	s_cbranch_execz .LBB12_94
	s_branch .LBB12_93
.LBB12_99:                              ;   in Loop: Header=BB12_96 Depth=2
	s_add_co_i32 s44, s44, 1
	s_mov_b32 s47, -1
                                        ; implicit-def: $vgpr9
	s_and_saveexec_b32 s57, s56
	s_cbranch_execz .LBB12_94
	s_branch .LBB12_93
.LBB12_100:                             ;   in Loop: Header=BB12_103 Depth=2
	s_wait_loadcnt_dscnt 0x0
	v_add_nc_u64_e32 v[12:13], 8, v[32:33]
	s_or_b32 s56, s56, exec_lo
	s_delay_alu instid0(VALU_DEP_1)
	v_cmp_ge_u64_e64 s16, v[12:13], v[10:11]
	s_or_not1_b32 s47, s16, exec_lo
.LBB12_101:                             ;   in Loop: Header=BB12_103 Depth=2
	s_or_b32 exec_lo, exec_lo, s58
	s_delay_alu instid0(SALU_CYCLE_1)
	s_and_not1_b32 s16, s44, exec_lo
	s_and_b32 s44, s56, exec_lo
	s_and_not1_b32 s21, s21, exec_lo
	s_and_b32 s47, s47, exec_lo
	s_or_b32 s44, s16, s44
	s_or_b32 s21, s21, s47
.LBB12_102:                             ;   in Loop: Header=BB12_103 Depth=2
	s_or_b32 exec_lo, exec_lo, s46
	s_delay_alu instid0(SALU_CYCLE_1) | instskip(NEXT) | instid1(SALU_CYCLE_1)
	s_and_b32 s16, exec_lo, s21
	s_or_b32 s19, s16, s19
	s_and_not1_b32 s16, s20, exec_lo
	s_and_b32 s20, s44, exec_lo
	s_delay_alu instid0(SALU_CYCLE_1)
	s_or_b32 s20, s16, s20
	s_and_not1_b32 exec_lo, exec_lo, s19
	s_cbranch_execz .LBB12_135
.LBB12_103:                             ;   Parent Loop BB12_77 Depth=1
                                        ; =>  This Inner Loop Header: Depth=2
	s_sleep 1
	s_wait_loadcnt_dscnt 0x0
	flat_load_b64 v[32:33], v[20:21] scope:SCOPE_SYS
	s_or_b32 s44, s44, exec_lo
	s_or_b32 s21, s21, exec_lo
                                        ; implicit-def: $vgpr9
	s_wait_xcnt 0x0
	s_and_saveexec_b32 s46, vcc_lo
	s_cbranch_execz .LBB12_102
; %bb.104:                              ;   in Loop: Header=BB12_103 Depth=2
	s_cmp_lt_i32 s45, 0x270f
	s_mov_b32 s47, -1
	s_cselect_b32 s57, -1, 0
	s_cmp_gt_i32 s45, 0x270e
	s_cbranch_scc0 .LBB12_106
; %bb.105:                              ;   in Loop: Header=BB12_103 Depth=2
	s_trap 2
	ds_load_b64 v[12:13], v0
	s_and_not1_b32 s45, s57, exec_lo
	s_mov_b32 s56, 0
	s_wait_storecnt 0x0
	s_wait_loadcnt_dscnt 0x0
	flat_load_b32 v9, v[12:13] scope:SCOPE_SYS
	s_wait_loadcnt_dscnt 0x0
	global_inv scope:SCOPE_SYS
	v_cmp_eq_u32_e64 s16, 0, v9
	s_and_b32 s16, s16, exec_lo
	s_delay_alu instid0(SALU_CYCLE_1)
	s_or_b32 s57, s45, s16
	s_mov_b32 s45, 0
	s_and_saveexec_b32 s58, s57
	s_cbranch_execz .LBB12_101
	s_branch .LBB12_100
.LBB12_106:                             ;   in Loop: Header=BB12_103 Depth=2
	s_add_co_i32 s45, s45, 1
	s_mov_b32 s56, -1
                                        ; implicit-def: $vgpr9
	s_and_saveexec_b32 s58, s57
	s_cbranch_execz .LBB12_101
	s_branch .LBB12_100
.LBB12_107:                             ;   in Loop: Header=BB12_77 Depth=1
	s_or_b32 exec_lo, exec_lo, s19
	s_xor_b32 s16, s20, -1
	s_delay_alu instid0(SALU_CYCLE_1) | instskip(NEXT) | instid1(SALU_CYCLE_1)
	s_and_saveexec_b32 s19, s16
	s_xor_b32 s16, exec_lo, s19
	s_cbranch_execz .LBB12_109
; %bb.108:                              ;   in Loop: Header=BB12_77 Depth=1
	v_or_b32_e32 v116, 64, v116
	s_wait_storecnt 0x0
	s_wait_loadcnt_dscnt 0x0
	ds_store_b32 v0, v9
	s_trap 2
.LBB12_109:                             ;   in Loop: Header=BB12_77 Depth=1
	s_or_b32 exec_lo, exec_lo, s16
.LBB12_110:                             ;   in Loop: Header=BB12_77 Depth=1
	s_delay_alu instid0(SALU_CYCLE_1) | instskip(SKIP_3) | instid1(VALU_DEP_1)
	s_or_b32 exec_lo, exec_lo, s18
	v_and_b32_e32 v9, 0x108, v116
	s_mov_b32 s16, exec_lo
	;;#ASMSTART
	s_wakeup
	;;#ASMEND
                                        ; implicit-def: $vgpr12_vgpr13
	v_cmpx_ne_u32_e32 0x108, v9
	s_xor_b32 s16, exec_lo, s16
; %bb.111:                              ;   in Loop: Header=BB12_77 Depth=1
	v_dual_mov_b32 v13, v35 :: v_dual_bitop2_b32 v12, 7, v8 bitop3:0x40
; %bb.112:                              ;   in Loop: Header=BB12_77 Depth=1
	s_and_not1_saveexec_b32 s16, s16
	s_cbranch_execz .LBB12_114
; %bb.113:                              ;   in Loop: Header=BB12_77 Depth=1
	v_dual_ashrrev_i32 v87, 31, v86 :: v_dual_bitop2_b32 v12, 7, v8 bitop3:0x40
	v_mov_b32_e32 v13, v35
	s_delay_alu instid0(VALU_DEP_2)
	v_mad_nc_u64_u32 v[8:9], v12, 24, v[6:7]
	flat_store_b64 v[8:9], v[86:87] offset:8
.LBB12_114:                             ;   in Loop: Header=BB12_77 Depth=1
	s_wait_xcnt 0x0
	s_or_b32 exec_lo, exec_lo, s16
	v_and_b32_e32 v8, 0x100, v116
	s_mov_b32 s16, -1
	s_delay_alu instid0(VALU_DEP_1)
	v_cmp_ne_u32_e32 vcc_lo, 0, v8
                                        ; implicit-def: $vgpr8_vgpr9
	s_and_saveexec_b32 s18, vcc_lo
	s_cbranch_execz .LBB12_118
; %bb.115:                              ;   in Loop: Header=BB12_77 Depth=1
	v_mad_nc_u64_u32 v[96:97], v12, 24, v[6:7]
	s_delay_alu instid0(VALU_DEP_1)
	v_mad_u32 v97, v13, 24, v97
	flat_load_b32 v8, v[96:97]
	s_wait_loadcnt_dscnt 0x0
	v_cmp_eq_u32_e64 s16, 1, v8
	v_cmp_ne_u32_e32 vcc_lo, 1, v8
                                        ; implicit-def: $vgpr8_vgpr9
	s_wait_xcnt 0x0
	s_and_saveexec_b32 s19, s16
	s_cbranch_execz .LBB12_117
; %bb.116:                              ;   in Loop: Header=BB12_77 Depth=1
	flat_load_b32 v8, v[96:97] offset:4 scope:SCOPE_SYS
	s_wait_loadcnt_dscnt 0x0
	v_ashrrev_i32_e32 v9, 31, v8
.LBB12_117:                             ;   in Loop: Header=BB12_77 Depth=1
	s_wait_xcnt 0x0
	s_or_b32 exec_lo, exec_lo, s19
	s_delay_alu instid0(SALU_CYCLE_1)
	s_or_not1_b32 s16, vcc_lo, exec_lo
.LBB12_118:                             ;   in Loop: Header=BB12_77 Depth=1
	s_or_b32 exec_lo, exec_lo, s18
	s_and_saveexec_b32 s18, s16
; %bb.119:                              ;   in Loop: Header=BB12_77 Depth=1
	v_mul_u64_e32 v[8:9], v[12:13], v[22:23]
; %bb.120:                              ;   in Loop: Header=BB12_77 Depth=1
	s_or_b32 exec_lo, exec_lo, s18
	v_cmp_eq_u32_e32 vcc_lo, 0, v34
	s_delay_alu instid0(VALU_DEP_2) | instskip(SKIP_3) | instid1(VALU_DEP_1)
	v_add_nc_u64_e32 v[8:9], v[24:25], v[8:9]
	v_and_b32_e32 v13, 0x2000, v116
	s_mov_b32 s16, exec_lo
	v_cndmask_b32_e32 v12, 0xd0, v119, vcc_lo
	v_add_nc_u32_e32 v12, v0, v12
	ds_store_b64 v12, v[8:9] offset:584
	v_cmpx_ne_u32_e32 0, v13
	s_cbranch_execz .LBB12_122
; %bb.121:                              ;   in Loop: Header=BB12_77 Depth=1
	ds_load_b64 v[8:9], v0 offset:872
	s_wait_dscnt 0x0
	v_add_nc_u64_e32 v[8:9], 1, v[8:9]
	ds_store_b64 v0, v[8:9] offset:872
.LBB12_122:                             ;   in Loop: Header=BB12_77 Depth=1
	s_or_b32 exec_lo, exec_lo, s16
	v_mov_b64_e32 v[8:9], v[10:11]
.LBB12_123:                             ;   in Loop: Header=BB12_77 Depth=1
	s_or_b32 exec_lo, exec_lo, s17
	s_and_saveexec_b32 s16, s3
	s_cbranch_execz .LBB12_166
; %bb.124:                              ;   in Loop: Header=BB12_77 Depth=1
	s_and_saveexec_b32 s17, s4
	s_delay_alu instid0(SALU_CYCLE_1)
	s_xor_b32 s17, exec_lo, s17
	s_cbranch_execz .LBB12_163
; %bb.125:                              ;   in Loop: Header=BB12_77 Depth=1
	s_and_saveexec_b32 s18, s7
	s_cbranch_execz .LBB12_162
; %bb.126:                              ;   in Loop: Header=BB12_77 Depth=1
	s_mov_b32 s20, exec_lo
	s_mov_b32 s19, exec_lo
	v_mbcnt_lo_u32_b32 v10, s20, 0
	global_wb scope:SCOPE_DEV
	s_wait_storecnt 0x0
	s_wait_loadcnt_dscnt 0x0
	global_inv scope:SCOPE_DEV
	v_cmpx_eq_u32_e32 0, v10
	s_cbranch_execz .LBB12_128
; %bb.127:                              ;   in Loop: Header=BB12_77 Depth=1
	s_bcnt1_i32_b32 s20, s20
	s_delay_alu instid0(SALU_CYCLE_1)
	v_mov_b32_e32 v34, s20
	s_wait_loadcnt 0x0
	ds_add_u64 v0, v[34:35]
	s_trap 2
.LBB12_128:                             ;   in Loop: Header=BB12_77 Depth=1
	s_or_b32 exec_lo, exec_lo, s19
	s_trap 2
	ds_load_b64 v[10:11], v0
	s_wait_dscnt 0x0
	v_add_nc_u64_e32 v[26:27], v[26:27], v[36:37]
	s_mov_b32 s19, exec_lo
	s_delay_alu instid0(VALU_DEP_1)
	v_cmpx_lt_u64_e64 v[10:11], v[26:27]
	s_cbranch_execz .LBB12_161
; %bb.129:                              ;   in Loop: Header=BB12_77 Depth=1
	s_mov_b32 s20, 0
	s_mov_b32 s44, 0
                                        ; implicit-def: $sgpr21
                                        ; implicit-def: $sgpr43
	s_branch .LBB12_131
.LBB12_130:                             ;   in Loop: Header=BB12_131 Depth=2
	s_or_b32 exec_lo, exec_lo, s46
	s_delay_alu instid0(SALU_CYCLE_1) | instskip(NEXT) | instid1(SALU_CYCLE_1)
	s_and_b32 s45, exec_lo, s47
	s_or_b32 s20, s45, s20
	s_and_not1_b32 s21, s21, exec_lo
	s_and_b32 s45, s43, exec_lo
	s_delay_alu instid0(SALU_CYCLE_1)
	s_or_b32 s21, s21, s45
	s_and_not1_b32 exec_lo, exec_lo, s20
	s_cbranch_execz .LBB12_159
.LBB12_131:                             ;   Parent Loop BB12_77 Depth=1
                                        ; =>  This Inner Loop Header: Depth=2
	s_add_co_i32 s44, s44, 1
	s_delay_alu instid0(SALU_CYCLE_1) | instskip(SKIP_1) | instid1(SALU_CYCLE_1)
	s_cmp_lg_u32 s44, 0x2710
	s_cselect_b32 s45, -1, 0
	s_and_b32 vcc_lo, exec_lo, s45
	s_cbranch_vccz .LBB12_133
; %bb.132:                              ;   in Loop: Header=BB12_131 Depth=2
	s_mov_b32 s47, -1
	s_or_b32 s43, s43, exec_lo
	s_and_saveexec_b32 s46, s45
	s_cbranch_execz .LBB12_130
	s_branch .LBB12_134
.LBB12_133:                             ;   in Loop: Header=BB12_131 Depth=2
	s_trap 2
	ds_load_b64 v[10:11], v0
	s_and_not1_b32 s45, s45, exec_lo
	s_mov_b32 s44, 0
	s_wait_loadcnt_dscnt 0x0
	flat_load_b32 v10, v[10:11] scope:SCOPE_SYS
	s_wait_loadcnt_dscnt 0x0
	global_inv scope:SCOPE_SYS
	v_cmp_eq_u32_e32 vcc_lo, 0, v10
	s_and_b32 s46, vcc_lo, exec_lo
	s_delay_alu instid0(SALU_CYCLE_1)
	s_or_b32 s45, s45, s46
	s_mov_b32 s47, -1
	s_or_b32 s43, s43, exec_lo
	s_and_saveexec_b32 s46, s45
	s_cbranch_execz .LBB12_130
.LBB12_134:                             ;   in Loop: Header=BB12_131 Depth=2
	s_sleep 1
	s_trap 2
	ds_load_b64 v[10:11], v0
	s_wait_dscnt 0x0
	s_and_not1_b32 s43, s43, exec_lo
	v_cmp_ge_u64_e32 vcc_lo, v[10:11], v[26:27]
	s_or_not1_b32 s47, vcc_lo, exec_lo
	s_branch .LBB12_130
.LBB12_135:                             ;   in Loop: Header=BB12_77 Depth=1
	s_or_b32 exec_lo, exec_lo, s19
	s_xor_b32 s16, s20, -1
	s_delay_alu instid0(SALU_CYCLE_1) | instskip(NEXT) | instid1(SALU_CYCLE_1)
	s_and_saveexec_b32 s19, s16
	s_xor_b32 s16, exec_lo, s19
	s_cbranch_execz .LBB12_137
; %bb.136:                              ;   in Loop: Header=BB12_77 Depth=1
	v_or_b32_e32 v116, 64, v116
	s_wait_storecnt 0x0
	s_wait_loadcnt_dscnt 0x0
	ds_store_b32 v0, v9
	s_trap 2
.LBB12_137:                             ;   in Loop: Header=BB12_77 Depth=1
	s_or_b32 exec_lo, exec_lo, s16
.LBB12_138:                             ;   in Loop: Header=BB12_77 Depth=1
	s_delay_alu instid0(SALU_CYCLE_1) | instskip(SKIP_4) | instid1(VALU_DEP_2)
	s_or_b32 exec_lo, exec_lo, s18
	v_and_b32_e32 v9, 0x100, v116
	v_and_b32_e32 v34, 7, v8
	s_mov_b32 s16, -1
	;;#ASMSTART
	s_wakeup
	;;#ASMEND
	v_cmp_ne_u32_e32 vcc_lo, 0, v9
                                        ; implicit-def: $vgpr8_vgpr9
	s_and_saveexec_b32 s18, vcc_lo
	s_cbranch_execz .LBB12_142
; %bb.139:                              ;   in Loop: Header=BB12_77 Depth=1
	v_mad_nc_u64_u32 v[12:13], v34, 24, v[6:7]
	v_ashrrev_i32_e32 v87, 31, v86
	s_clause 0x1
	flat_load_b32 v8, v[12:13]
	flat_store_b64 v[12:13], v[86:87] offset:8
	s_wait_loadcnt_dscnt 0x1
	v_cmp_eq_u32_e64 s16, 1, v8
	v_cmp_ne_u32_e32 vcc_lo, 1, v8
                                        ; implicit-def: $vgpr8_vgpr9
	s_wait_xcnt 0x0
	s_and_saveexec_b32 s19, s16
	s_cbranch_execz .LBB12_141
; %bb.140:                              ;   in Loop: Header=BB12_77 Depth=1
	flat_load_b32 v8, v[12:13] offset:4 scope:SCOPE_SYS
	s_wait_loadcnt_dscnt 0x0
	v_ashrrev_i32_e32 v9, 31, v8
.LBB12_141:                             ;   in Loop: Header=BB12_77 Depth=1
	s_wait_xcnt 0x0
	s_or_b32 exec_lo, exec_lo, s19
	s_delay_alu instid0(SALU_CYCLE_1)
	s_or_not1_b32 s16, vcc_lo, exec_lo
.LBB12_142:                             ;   in Loop: Header=BB12_77 Depth=1
	s_or_b32 exec_lo, exec_lo, s18
	s_and_saveexec_b32 s18, s16
; %bb.143:                              ;   in Loop: Header=BB12_77 Depth=1
	v_mul_u64_e32 v[8:9], v[34:35], v[22:23]
; %bb.144:                              ;   in Loop: Header=BB12_77 Depth=1
	s_or_b32 exec_lo, exec_lo, s18
	s_delay_alu instid0(VALU_DEP_1)
	v_add_nc_u64_e32 v[8:9], v[24:25], v[8:9]
	v_and_b32_e32 v12, 0x2000, v116
	s_mov_b32 s16, exec_lo
	ds_store_b64 v0, v[8:9] offset:792
	v_cmpx_ne_u32_e32 0, v12
	s_cbranch_execz .LBB12_146
; %bb.145:                              ;   in Loop: Header=BB12_77 Depth=1
	ds_load_b64 v[8:9], v0 offset:872
	s_wait_dscnt 0x0
	v_add_nc_u64_e32 v[8:9], 1, v[8:9]
	ds_store_b64 v0, v[8:9] offset:872
.LBB12_146:                             ;   in Loop: Header=BB12_77 Depth=1
	s_or_b32 exec_lo, exec_lo, s16
	v_mov_b64_e32 v[8:9], v[10:11]
.LBB12_147:                             ;   in Loop: Header=BB12_77 Depth=1
	s_or_b32 exec_lo, exec_lo, s17
	s_and_saveexec_b32 s16, s3
	s_cbranch_execz .LBB12_185
; %bb.148:                              ;   in Loop: Header=BB12_77 Depth=1
	s_and_saveexec_b32 s17, s4
	s_delay_alu instid0(SALU_CYCLE_1)
	s_xor_b32 s17, exec_lo, s17
	s_cbranch_execz .LBB12_182
; %bb.149:                              ;   in Loop: Header=BB12_77 Depth=1
	s_and_saveexec_b32 s18, s7
	s_cbranch_execz .LBB12_181
; %bb.150:                              ;   in Loop: Header=BB12_77 Depth=1
	s_mov_b32 s20, exec_lo
	s_mov_b32 s19, exec_lo
	v_mbcnt_lo_u32_b32 v10, s20, 0
	global_wb scope:SCOPE_DEV
	s_wait_storecnt 0x0
	s_wait_loadcnt_dscnt 0x0
	global_inv scope:SCOPE_DEV
	v_cmpx_eq_u32_e32 0, v10
	s_cbranch_execz .LBB12_152
; %bb.151:                              ;   in Loop: Header=BB12_77 Depth=1
	s_bcnt1_i32_b32 s20, s20
	s_delay_alu instid0(SALU_CYCLE_1)
	v_mov_b32_e32 v34, s20
	s_wait_loadcnt 0x0
	ds_add_u64 v0, v[34:35]
	s_trap 2
.LBB12_152:                             ;   in Loop: Header=BB12_77 Depth=1
	s_or_b32 exec_lo, exec_lo, s19
	s_trap 2
	ds_load_b64 v[10:11], v0
	s_wait_dscnt 0x0
	v_add_nc_u64_e32 v[26:27], v[26:27], v[36:37]
	s_mov_b32 s19, exec_lo
	s_delay_alu instid0(VALU_DEP_1)
	v_cmpx_lt_u64_e64 v[10:11], v[26:27]
	s_cbranch_execz .LBB12_180
; %bb.153:                              ;   in Loop: Header=BB12_77 Depth=1
	s_mov_b32 s20, 0
	s_mov_b32 s45, 0
                                        ; implicit-def: $sgpr21
                                        ; implicit-def: $sgpr44
	s_branch .LBB12_155
.LBB12_154:                             ;   in Loop: Header=BB12_155 Depth=2
	s_or_b32 exec_lo, exec_lo, s47
	s_delay_alu instid0(SALU_CYCLE_1) | instskip(NEXT) | instid1(SALU_CYCLE_1)
	s_and_b32 s46, exec_lo, s56
	s_or_b32 s20, s46, s20
	s_and_not1_b32 s21, s21, exec_lo
	s_and_b32 s46, s44, exec_lo
	s_delay_alu instid0(SALU_CYCLE_1)
	s_or_b32 s21, s21, s46
	s_and_not1_b32 exec_lo, exec_lo, s20
	s_cbranch_execz .LBB12_178
.LBB12_155:                             ;   Parent Loop BB12_77 Depth=1
                                        ; =>  This Inner Loop Header: Depth=2
	s_add_co_i32 s45, s45, 1
	s_delay_alu instid0(SALU_CYCLE_1) | instskip(SKIP_1) | instid1(SALU_CYCLE_1)
	s_cmp_lg_u32 s45, 0x2710
	s_cselect_b32 s46, -1, 0
	s_and_b32 vcc_lo, exec_lo, s46
	s_cbranch_vccz .LBB12_157
; %bb.156:                              ;   in Loop: Header=BB12_155 Depth=2
	s_mov_b32 s56, -1
	s_or_b32 s44, s44, exec_lo
	s_and_saveexec_b32 s47, s46
	s_cbranch_execz .LBB12_154
	s_branch .LBB12_158
.LBB12_157:                             ;   in Loop: Header=BB12_155 Depth=2
	s_trap 2
	ds_load_b64 v[10:11], v0
	s_and_not1_b32 s46, s46, exec_lo
	s_mov_b32 s45, 0
	s_wait_loadcnt_dscnt 0x0
	flat_load_b32 v10, v[10:11] scope:SCOPE_SYS
	s_wait_loadcnt_dscnt 0x0
	global_inv scope:SCOPE_SYS
	v_cmp_eq_u32_e32 vcc_lo, 0, v10
	s_and_b32 s47, vcc_lo, exec_lo
	s_delay_alu instid0(SALU_CYCLE_1)
	s_or_b32 s46, s46, s47
	s_mov_b32 s56, -1
	s_or_b32 s44, s44, exec_lo
	s_and_saveexec_b32 s47, s46
	s_cbranch_execz .LBB12_154
.LBB12_158:                             ;   in Loop: Header=BB12_155 Depth=2
	s_sleep 1
	s_trap 2
	ds_load_b64 v[10:11], v0
	s_wait_dscnt 0x0
	s_and_not1_b32 s44, s44, exec_lo
	v_cmp_ge_u64_e32 vcc_lo, v[10:11], v[26:27]
	s_or_not1_b32 s56, vcc_lo, exec_lo
	s_branch .LBB12_154
.LBB12_159:                             ;   in Loop: Header=BB12_77 Depth=1
	s_or_b32 exec_lo, exec_lo, s20
	s_and_saveexec_b32 s20, s21
	s_delay_alu instid0(SALU_CYCLE_1)
	s_xor_b32 s20, exec_lo, s20
	s_cbranch_execz .LBB12_161
; %bb.160:                              ;   in Loop: Header=BB12_77 Depth=1
	ds_store_b32 v0, v118
	s_trap 2
.LBB12_161:                             ;   in Loop: Header=BB12_77 Depth=1
	s_or_b32 exec_lo, exec_lo, s19
	;;#ASMSTART
	s_wakeup
	;;#ASMEND
.LBB12_162:                             ;   in Loop: Header=BB12_77 Depth=1
	s_or_b32 exec_lo, exec_lo, s18
.LBB12_163:                             ;   in Loop: Header=BB12_77 Depth=1
	s_and_not1_saveexec_b32 s17, s17
	s_cbranch_execz .LBB12_165
; %bb.164:                              ;   in Loop: Header=BB12_77 Depth=1
	global_wb scope:SCOPE_DEV
	s_wait_storecnt 0x0
	s_wait_loadcnt_dscnt 0x0
	global_inv scope:SCOPE_DEV
	s_barrier_signal -1
	s_barrier_wait -1
.LBB12_165:                             ;   in Loop: Header=BB12_77 Depth=1
	s_or_b32 exec_lo, exec_lo, s17
.LBB12_166:                             ;   in Loop: Header=BB12_77 Depth=1
	s_delay_alu instid0(SALU_CYCLE_1) | instskip(SKIP_3) | instid1(VALU_DEP_1)
	s_or_b32 exec_lo, exec_lo, s16
	s_trap 2
	ds_load_b32 v10, v0
	v_and_b32_e32 v11, 0x4000, v116
	v_cmp_ne_u32_e32 vcc_lo, 0, v11
	s_and_b32 s17, s29, vcc_lo
	s_delay_alu instid0(SALU_CYCLE_1)
	s_and_saveexec_b32 s16, s17
	s_cbranch_execz .LBB12_204
; %bb.167:                              ;   in Loop: Header=BB12_77 Depth=1
	s_and_saveexec_b32 s17, s4
	s_delay_alu instid0(SALU_CYCLE_1)
	s_xor_b32 s17, exec_lo, s17
	s_cbranch_execz .LBB12_201
; %bb.168:                              ;   in Loop: Header=BB12_77 Depth=1
	s_and_saveexec_b32 s18, s7
	s_cbranch_execz .LBB12_200
; %bb.169:                              ;   in Loop: Header=BB12_77 Depth=1
	s_mov_b32 s20, exec_lo
	s_mov_b32 s19, exec_lo
	v_mbcnt_lo_u32_b32 v11, s20, 0
	global_wb scope:SCOPE_DEV
	s_wait_storecnt 0x0
	s_wait_loadcnt_dscnt 0x0
	global_inv scope:SCOPE_DEV
	v_cmpx_eq_u32_e32 0, v11
	s_cbranch_execz .LBB12_171
; %bb.170:                              ;   in Loop: Header=BB12_77 Depth=1
	s_bcnt1_i32_b32 s20, s20
	s_delay_alu instid0(SALU_CYCLE_1)
	v_mov_b32_e32 v34, s20
	s_wait_loadcnt 0x0
	ds_add_u64 v0, v[34:35]
	s_trap 2
.LBB12_171:                             ;   in Loop: Header=BB12_77 Depth=1
	s_or_b32 exec_lo, exec_lo, s19
	s_trap 2
	ds_load_b64 v[12:13], v0
	s_wait_dscnt 0x0
	v_add_nc_u64_e32 v[26:27], v[26:27], v[36:37]
	s_mov_b32 s19, exec_lo
	s_delay_alu instid0(VALU_DEP_1)
	v_cmpx_lt_u64_e64 v[12:13], v[26:27]
	s_cbranch_execz .LBB12_199
; %bb.172:                              ;   in Loop: Header=BB12_77 Depth=1
	s_mov_b32 s20, 0
	s_mov_b32 s44, 0
                                        ; implicit-def: $sgpr21
                                        ; implicit-def: $sgpr43
	s_branch .LBB12_174
.LBB12_173:                             ;   in Loop: Header=BB12_174 Depth=2
	s_or_b32 exec_lo, exec_lo, s46
	s_delay_alu instid0(SALU_CYCLE_1) | instskip(NEXT) | instid1(SALU_CYCLE_1)
	s_and_b32 s45, exec_lo, s47
	s_or_b32 s20, s45, s20
	s_and_not1_b32 s21, s21, exec_lo
	s_and_b32 s45, s43, exec_lo
	s_delay_alu instid0(SALU_CYCLE_1)
	s_or_b32 s21, s21, s45
	s_and_not1_b32 exec_lo, exec_lo, s20
	s_cbranch_execz .LBB12_197
.LBB12_174:                             ;   Parent Loop BB12_77 Depth=1
                                        ; =>  This Inner Loop Header: Depth=2
	s_add_co_i32 s44, s44, 1
	s_delay_alu instid0(SALU_CYCLE_1) | instskip(SKIP_1) | instid1(SALU_CYCLE_1)
	s_cmp_lg_u32 s44, 0x2710
	s_cselect_b32 s45, -1, 0
	s_and_b32 vcc_lo, exec_lo, s45
	s_cbranch_vccz .LBB12_176
; %bb.175:                              ;   in Loop: Header=BB12_174 Depth=2
	s_mov_b32 s47, -1
	s_or_b32 s43, s43, exec_lo
	s_and_saveexec_b32 s46, s45
	s_cbranch_execz .LBB12_173
	s_branch .LBB12_177
.LBB12_176:                             ;   in Loop: Header=BB12_174 Depth=2
	s_trap 2
	ds_load_b64 v[12:13], v0
	s_and_not1_b32 s45, s45, exec_lo
	s_mov_b32 s44, 0
	s_wait_loadcnt_dscnt 0x0
	flat_load_b32 v11, v[12:13] scope:SCOPE_SYS
	s_wait_loadcnt_dscnt 0x0
	global_inv scope:SCOPE_SYS
	v_cmp_eq_u32_e32 vcc_lo, 0, v11
	s_and_b32 s46, vcc_lo, exec_lo
	s_delay_alu instid0(SALU_CYCLE_1)
	s_or_b32 s45, s45, s46
	s_mov_b32 s47, -1
	s_or_b32 s43, s43, exec_lo
	s_and_saveexec_b32 s46, s45
	s_cbranch_execz .LBB12_173
.LBB12_177:                             ;   in Loop: Header=BB12_174 Depth=2
	s_sleep 1
	s_trap 2
	ds_load_b64 v[12:13], v0
	s_wait_dscnt 0x0
	s_and_not1_b32 s43, s43, exec_lo
	v_cmp_ge_u64_e32 vcc_lo, v[12:13], v[26:27]
	s_or_not1_b32 s47, vcc_lo, exec_lo
	s_branch .LBB12_173
.LBB12_178:                             ;   in Loop: Header=BB12_77 Depth=1
	s_or_b32 exec_lo, exec_lo, s20
	s_and_saveexec_b32 s20, s21
	s_delay_alu instid0(SALU_CYCLE_1)
	s_xor_b32 s20, exec_lo, s20
	s_cbranch_execz .LBB12_180
; %bb.179:                              ;   in Loop: Header=BB12_77 Depth=1
	ds_store_b32 v0, v118
	s_trap 2
.LBB12_180:                             ;   in Loop: Header=BB12_77 Depth=1
	s_or_b32 exec_lo, exec_lo, s19
	;;#ASMSTART
	s_wakeup
	;;#ASMEND
.LBB12_181:                             ;   in Loop: Header=BB12_77 Depth=1
	s_or_b32 exec_lo, exec_lo, s18
.LBB12_182:                             ;   in Loop: Header=BB12_77 Depth=1
	s_and_not1_saveexec_b32 s17, s17
	s_cbranch_execz .LBB12_184
; %bb.183:                              ;   in Loop: Header=BB12_77 Depth=1
	global_wb scope:SCOPE_DEV
	s_wait_storecnt 0x0
	s_wait_loadcnt_dscnt 0x0
	global_inv scope:SCOPE_DEV
	s_barrier_signal -1
	s_barrier_wait -1
.LBB12_184:                             ;   in Loop: Header=BB12_77 Depth=1
	s_or_b32 exec_lo, exec_lo, s17
.LBB12_185:                             ;   in Loop: Header=BB12_77 Depth=1
	s_delay_alu instid0(SALU_CYCLE_1) | instskip(SKIP_3) | instid1(VALU_DEP_1)
	s_or_b32 exec_lo, exec_lo, s16
	s_trap 2
	ds_load_b32 v10, v0
	v_and_b32_e32 v11, 0x4000, v116
	v_cmp_ne_u32_e32 vcc_lo, 0, v11
	s_and_b32 s17, s29, vcc_lo
	s_delay_alu instid0(SALU_CYCLE_1)
	s_and_saveexec_b32 s16, s17
	s_cbranch_execz .LBB12_292
; %bb.186:                              ;   in Loop: Header=BB12_77 Depth=1
	s_and_saveexec_b32 s17, s4
	s_delay_alu instid0(SALU_CYCLE_1)
	s_xor_b32 s17, exec_lo, s17
	s_cbranch_execz .LBB12_289
; %bb.187:                              ;   in Loop: Header=BB12_77 Depth=1
	s_and_saveexec_b32 s18, s7
	s_cbranch_execz .LBB12_288
; %bb.188:                              ;   in Loop: Header=BB12_77 Depth=1
	s_mov_b32 s20, exec_lo
	s_mov_b32 s19, exec_lo
	v_mbcnt_lo_u32_b32 v11, s20, 0
	global_wb scope:SCOPE_DEV
	s_wait_storecnt 0x0
	s_wait_loadcnt_dscnt 0x0
	global_inv scope:SCOPE_DEV
	v_cmpx_eq_u32_e32 0, v11
	s_cbranch_execz .LBB12_190
; %bb.189:                              ;   in Loop: Header=BB12_77 Depth=1
	s_bcnt1_i32_b32 s20, s20
	s_delay_alu instid0(SALU_CYCLE_1)
	v_mov_b32_e32 v34, s20
	s_wait_loadcnt 0x0
	ds_add_u64 v0, v[34:35]
	s_trap 2
.LBB12_190:                             ;   in Loop: Header=BB12_77 Depth=1
	s_or_b32 exec_lo, exec_lo, s19
	s_trap 2
	ds_load_b64 v[12:13], v0
	s_wait_dscnt 0x0
	v_add_nc_u64_e32 v[26:27], v[26:27], v[36:37]
	s_mov_b32 s19, exec_lo
	s_delay_alu instid0(VALU_DEP_1)
	v_cmpx_lt_u64_e64 v[12:13], v[26:27]
	s_cbranch_execz .LBB12_287
; %bb.191:                              ;   in Loop: Header=BB12_77 Depth=1
	s_mov_b32 s20, 0
	s_mov_b32 s45, 0
                                        ; implicit-def: $sgpr21
                                        ; implicit-def: $sgpr44
	s_branch .LBB12_193
.LBB12_192:                             ;   in Loop: Header=BB12_193 Depth=2
	s_or_b32 exec_lo, exec_lo, s47
	s_delay_alu instid0(SALU_CYCLE_1) | instskip(NEXT) | instid1(SALU_CYCLE_1)
	s_and_b32 s46, exec_lo, s56
	s_or_b32 s20, s46, s20
	s_and_not1_b32 s21, s21, exec_lo
	s_and_b32 s46, s44, exec_lo
	s_delay_alu instid0(SALU_CYCLE_1)
	s_or_b32 s21, s21, s46
	s_and_not1_b32 exec_lo, exec_lo, s20
	s_cbranch_execz .LBB12_285
.LBB12_193:                             ;   Parent Loop BB12_77 Depth=1
                                        ; =>  This Inner Loop Header: Depth=2
	s_add_co_i32 s45, s45, 1
	s_delay_alu instid0(SALU_CYCLE_1) | instskip(SKIP_1) | instid1(SALU_CYCLE_1)
	s_cmp_lg_u32 s45, 0x2710
	s_cselect_b32 s46, -1, 0
	s_and_b32 vcc_lo, exec_lo, s46
	s_cbranch_vccz .LBB12_195
; %bb.194:                              ;   in Loop: Header=BB12_193 Depth=2
	s_mov_b32 s56, -1
	s_or_b32 s44, s44, exec_lo
	s_and_saveexec_b32 s47, s46
	s_cbranch_execz .LBB12_192
	s_branch .LBB12_196
.LBB12_195:                             ;   in Loop: Header=BB12_193 Depth=2
	s_trap 2
	ds_load_b64 v[12:13], v0
	s_and_not1_b32 s46, s46, exec_lo
	s_mov_b32 s45, 0
	s_wait_loadcnt_dscnt 0x0
	flat_load_b32 v11, v[12:13] scope:SCOPE_SYS
	s_wait_loadcnt_dscnt 0x0
	global_inv scope:SCOPE_SYS
	v_cmp_eq_u32_e32 vcc_lo, 0, v11
	s_and_b32 s47, vcc_lo, exec_lo
	s_delay_alu instid0(SALU_CYCLE_1)
	s_or_b32 s46, s46, s47
	s_mov_b32 s56, -1
	s_or_b32 s44, s44, exec_lo
	s_and_saveexec_b32 s47, s46
	s_cbranch_execz .LBB12_192
.LBB12_196:                             ;   in Loop: Header=BB12_193 Depth=2
	s_sleep 1
	s_trap 2
	ds_load_b64 v[12:13], v0
	s_wait_dscnt 0x0
	s_and_not1_b32 s44, s44, exec_lo
	v_cmp_ge_u64_e32 vcc_lo, v[12:13], v[26:27]
	s_or_not1_b32 s56, vcc_lo, exec_lo
	s_branch .LBB12_192
.LBB12_197:                             ;   in Loop: Header=BB12_77 Depth=1
	s_or_b32 exec_lo, exec_lo, s20
	s_and_saveexec_b32 s20, s21
	s_delay_alu instid0(SALU_CYCLE_1)
	s_xor_b32 s20, exec_lo, s20
	s_cbranch_execz .LBB12_199
; %bb.198:                              ;   in Loop: Header=BB12_77 Depth=1
	ds_store_b32 v0, v118
	s_trap 2
.LBB12_199:                             ;   in Loop: Header=BB12_77 Depth=1
	s_or_b32 exec_lo, exec_lo, s19
	;;#ASMSTART
	s_wakeup
	;;#ASMEND
.LBB12_200:                             ;   in Loop: Header=BB12_77 Depth=1
	s_or_b32 exec_lo, exec_lo, s18
.LBB12_201:                             ;   in Loop: Header=BB12_77 Depth=1
	s_and_not1_saveexec_b32 s17, s17
	s_cbranch_execz .LBB12_203
; %bb.202:                              ;   in Loop: Header=BB12_77 Depth=1
	global_wb scope:SCOPE_DEV
	s_wait_storecnt 0x0
	s_wait_loadcnt_dscnt 0x0
	global_inv scope:SCOPE_DEV
	s_barrier_signal -1
	s_barrier_wait -1
.LBB12_203:                             ;   in Loop: Header=BB12_77 Depth=1
	s_or_b32 exec_lo, exec_lo, s17
.LBB12_204:                             ;   in Loop: Header=BB12_77 Depth=1
	s_delay_alu instid0(SALU_CYCLE_1)
	s_or_b32 exec_lo, exec_lo, s16
	s_trap 2
	ds_load_b64 v[96:97], v0
	s_wait_dscnt 0x0
	v_cmp_eq_u64_e32 vcc_lo, 0, v[96:97]
	s_cbranch_vccnz .LBB12_273
; %bb.205:                              ;   in Loop: Header=BB12_77 Depth=1
	s_trap 2
	ds_load_b64 v[98:99], v0
	s_wait_dscnt 0x0
	v_cmp_eq_u64_e32 vcc_lo, 0, v[98:99]
	s_cbranch_vccnz .LBB12_273
; %bb.206:                              ;   in Loop: Header=BB12_77 Depth=1
	s_trap 2
	ds_load_b64 v[100:101], v0
	v_cmp_eq_u32_e64 s16, 0, v10
	s_delay_alu instid0(VALU_DEP_1)
	v_cndmask_b32_e64 v34, 0, v86, s16
	s_mov_b32 s16, -1
	s_wait_dscnt 0x0
	v_cmp_ne_u64_e32 vcc_lo, 0, v[100:101]
	s_cbranch_vccz .LBB12_239
; %bb.207:                              ;   in Loop: Header=BB12_77 Depth=1
	s_and_saveexec_b32 s17, s10
	s_cbranch_execz .LBB12_209
; %bb.208:                              ;   in Loop: Header=BB12_77 Depth=1
	ds_load_b32 v10, v0 offset:720
	s_wait_dscnt 0x0
	v_and_b32_e32 v10, 15, v10
	s_delay_alu instid0(VALU_DEP_1)
	v_cmp_eq_u32_e32 vcc_lo, 0, v10
	s_or_not1_b32 s16, vcc_lo, exec_lo
.LBB12_209:                             ;   in Loop: Header=BB12_77 Depth=1
	s_or_b32 exec_lo, exec_lo, s17
	s_and_saveexec_b32 s17, s11
	s_cbranch_execz .LBB12_211
; %bb.210:                              ;   in Loop: Header=BB12_77 Depth=1
	ds_load_b32 v10, v0 offset:784
	s_wait_dscnt 0x0
	v_and_b32_e32 v10, 15, v10
	s_delay_alu instid0(VALU_DEP_1) | instskip(SKIP_3) | instid1(SALU_CYCLE_1)
	v_cmp_eq_u32_e32 vcc_lo, 0, v10
	s_and_b32 s18, s16, vcc_lo
	s_and_not1_b32 s16, s16, exec_lo
	s_and_b32 s18, s18, exec_lo
	s_or_b32 s16, s16, s18
.LBB12_211:                             ;   in Loop: Header=BB12_77 Depth=1
	s_or_b32 exec_lo, exec_lo, s17
	s_xor_b32 s16, s16, -1
	v_dual_mov_b32 v87, 0 :: v_dual_mov_b32 v102, v34
	v_cndmask_b32_e64 v10, 0, 1, s16
	v_mov_b32_e32 v103, v0
	s_mov_b32 s16, -1
	s_delay_alu instid0(VALU_DEP_2)
	v_cmp_ne_u32_e32 vcc_lo, 0, v10
	v_mov_b32_e32 v10, v41
	s_cbranch_vccnz .LBB12_227
; %bb.212:                              ;   in Loop: Header=BB12_77 Depth=1
	v_ashrrev_i32_e32 v10, 31, v34
	s_mov_b32 s16, exec_lo
	s_delay_alu instid0(VALU_DEP_1) | instskip(NEXT) | instid1(VALU_DEP_1)
	v_lshrrev_b32_e32 v10, 21, v10
	v_add_nc_u32_e32 v10, v34, v10
	s_delay_alu instid0(VALU_DEP_1) | instskip(NEXT) | instid1(VALU_DEP_1)
	v_ashrrev_i32_e32 v87, 11, v10
	v_sub_nc_u32_e32 v112, v87, v41
	s_delay_alu instid0(VALU_DEP_1)
	v_cmpx_lt_i32_e32 0, v112
	s_cbranch_execz .LBB12_216
; %bb.213:                              ;   in Loop: Header=BB12_77 Depth=1
	v_add_nc_u64_e32 v[10:11], v[96:97], v[70:71]
	v_add_nc_u64_e32 v[12:13], v[98:99], v[70:71]
	v_add_nc_u64_e32 v[102:103], v[100:101], v[70:71]
	s_mov_b32 s17, 0
.LBB12_214:                             ;   Parent Loop BB12_77 Depth=1
                                        ; =>  This Inner Loop Header: Depth=2
	s_clause 0x3
	global_load_b128 v[44:47], v[10:11], off th:TH_LOAD_NT
	global_load_b128 v[56:59], v[10:11], off offset:512 th:TH_LOAD_NT
	global_load_b128 v[60:63], v[10:11], off offset:1024 th:TH_LOAD_NT
	global_load_b128 v[72:75], v[10:11], off offset:1536 th:TH_LOAD_NT
	v_sub_nc_u32_e32 v112, v112, v36
	s_wait_xcnt 0x0
	v_add_nc_u64_e32 v[10:11], v[10:11], v[50:51]
	s_wait_loadcnt 0x3
	global_store_b128 v[12:13], v[44:47], off th:TH_STORE_NT
	s_wait_loadcnt 0x2
	global_store_b128 v[12:13], v[56:59], off offset:512 th:TH_STORE_NT
	s_wait_loadcnt 0x1
	global_store_b128 v[12:13], v[60:63], off offset:1024 th:TH_STORE_NT
	;; [unrolled: 2-line block ×3, first 2 shown]
	s_clause 0x3
	global_store_b128 v[102:103], v[44:47], off th:TH_STORE_NT
	global_store_b128 v[102:103], v[56:59], off offset:512 th:TH_STORE_NT
	global_store_b128 v[102:103], v[60:63], off offset:1024 th:TH_STORE_NT
	;; [unrolled: 1-line block ×3, first 2 shown]
	v_cmp_gt_i32_e32 vcc_lo, 1, v112
	s_wait_xcnt 0x4
	v_add_nc_u64_e32 v[12:13], v[12:13], v[50:51]
	s_wait_xcnt 0x0
	v_add_nc_u64_e32 v[102:103], v[102:103], v[50:51]
	s_or_b32 s17, vcc_lo, s17
	s_delay_alu instid0(SALU_CYCLE_1)
	s_and_not1_b32 exec_lo, exec_lo, s17
	s_cbranch_execnz .LBB12_214
; %bb.215:                              ;   in Loop: Header=BB12_77 Depth=1
	s_or_b32 exec_lo, exec_lo, s17
.LBB12_216:                             ;   in Loop: Header=BB12_77 Depth=1
	s_delay_alu instid0(SALU_CYCLE_1) | instskip(SKIP_3) | instid1(VALU_DEP_1)
	s_or_b32 exec_lo, exec_lo, s16
	v_dual_mov_b32 v87, 0 :: v_dual_lshlrev_b32 v44, 11, v87
	s_mov_b32 s16, 0
	s_mov_b32 s19, exec_lo
                                        ; implicit-def: $vgpr102
                                        ; implicit-def: $vgpr103
                                        ; implicit-def: $vgpr10
	v_cmpx_ne_u32_e64 v34, v44
	s_cbranch_execz .LBB12_226
; %bb.217:                              ;   in Loop: Header=BB12_77 Depth=1
	v_lshlrev_b32_e32 v10, 5, v112
	v_sub_nc_u32_e32 v12, v34, v44
	s_mov_b32 s43, exec_lo
	s_delay_alu instid0(VALU_DEP_1) | instskip(NEXT) | instid1(VALU_DEP_1)
	v_dual_sub_nc_u32 v10, v42, v10 :: v_dual_ashrrev_i32 v13, 31, v12
	v_dual_ashrrev_i32 v11, 31, v10 :: v_dual_lshrrev_b32 v13, 23, v13
	s_delay_alu instid0(VALU_DEP_1) | instskip(NEXT) | instid1(VALU_DEP_1)
	v_lshrrev_b32_e32 v11, 27, v11
	v_add_nc_u32_e32 v11, v10, v11
	s_delay_alu instid0(VALU_DEP_1) | instskip(NEXT) | instid1(VALU_DEP_4)
	v_and_b32_e32 v87, 0xffffffe0, v11
	v_dual_ashrrev_i32 v11, 5, v11 :: v_dual_add_nc_u32 v13, v12, v13
	s_delay_alu instid0(VALU_DEP_1) | instskip(NEXT) | instid1(VALU_DEP_3)
	v_and_b32_e32 v45, 0xfffffe00, v13
	v_dual_sub_nc_u32 v46, v10, v87 :: v_dual_ashrrev_i32 v13, 9, v13
	s_delay_alu instid0(VALU_DEP_1) | instskip(NEXT) | instid1(VALU_DEP_1)
	v_dual_sub_nc_u32 v47, v12, v45 :: v_dual_lshlrev_b32 v10, 4, v46
	v_cmp_lt_i32_e64 s16, 15, v47
	s_delay_alu instid0(VALU_DEP_2) | instskip(NEXT) | instid1(VALU_DEP_2)
	v_lshl_add_u32 v10, v11, 9, v10
	v_add_co_ci_u32_e64 v13, null, 0, v13, s16
	s_delay_alu instid0(VALU_DEP_1) | instskip(NEXT) | instid1(VALU_DEP_1)
	v_dual_sub_nc_u32 v87, v12, v10 :: v_dual_sub_nc_u32 v56, v13, v11
	v_cmpx_lt_i32_e32 15, v87
	s_cbranch_execz .LBB12_223
; %bb.218:                              ;   in Loop: Header=BB12_77 Depth=1
	v_add_nc_u32_e32 v10, v10, v44
	s_mov_b32 s44, 0
	s_delay_alu instid0(VALU_DEP_1) | instskip(NEXT) | instid1(VALU_DEP_1)
	v_ashrrev_i32_e32 v11, 31, v10
	v_add_nc_u64_e32 v[102:103], v[10:11], v[96:97]
	v_add_nc_u64_e32 v[112:113], v[10:11], v[98:99]
	v_add_nc_u64_e32 v[114:115], v[10:11], v[100:101]
.LBB12_219:                             ;   Parent Loop BB12_77 Depth=1
                                        ; =>  This Loop Header: Depth=2
                                        ;       Child Loop BB12_220 Depth 3
	global_load_b128 v[10:13], v[102:103], off th:TH_LOAD_NT
	s_mov_b64 s[20:21], 0
	s_mov_b32 s45, -1
.LBB12_220:                             ;   Parent Loop BB12_77 Depth=1
                                        ;     Parent Loop BB12_219 Depth=2
                                        ; =>    This Inner Loop Header: Depth=3
	s_cmp_eq_u32 s20, 1
	s_cselect_b32 vcc_lo, -1, 0
	s_cmp_eq_u32 s20, 0
	s_wait_xcnt 0x0
	v_dual_cndmask_b32 v59, v113, v115 :: v_dual_cndmask_b32 v58, v112, v114
	s_cselect_b32 s17, -1, 0
	s_and_b32 s18, exec_lo, s45
	s_mov_b64 s[20:21], 1
	s_mov_b32 s45, 0
	v_add_nc_u64_e32 v[60:61], 0x200, v[58:59]
	s_wait_loadcnt 0x0
	global_store_b128 v[58:59], v[10:13], off th:TH_STORE_NT
	v_dual_cndmask_b32 v115, v115, v61 :: v_dual_cndmask_b32 v114, v114, v60
	v_dual_cndmask_b32 v113, v113, v61, s17 :: v_dual_cndmask_b32 v112, v112, v60, s17
	s_mov_b32 vcc_lo, s18
	s_cbranch_vccnz .LBB12_220
; %bb.221:                              ;   in Loop: Header=BB12_219 Depth=2
	v_sub_nc_u32_e32 v87, v87, v40
	s_delay_alu instid0(VALU_DEP_2)
	v_add_nc_u64_e32 v[112:113], v[112:113], v[68:69]
	v_add_nc_u64_e32 v[114:115], v[114:115], v[68:69]
	s_wait_xcnt 0x1
	v_add_nc_u64_e32 v[102:103], v[82:83], v[102:103]
	v_sub_nc_u32_e32 v56, v56, v36
	v_cmp_gt_i32_e32 vcc_lo, 16, v87
	s_or_b32 s44, vcc_lo, s44
	s_wait_xcnt 0x0
	s_and_not1_b32 exec_lo, exec_lo, s44
	s_cbranch_execnz .LBB12_219
; %bb.222:                              ;   in Loop: Header=BB12_77 Depth=1
	s_or_b32 exec_lo, exec_lo, s44
.LBB12_223:                             ;   in Loop: Header=BB12_77 Depth=1
	s_delay_alu instid0(SALU_CYCLE_1) | instskip(SKIP_3) | instid1(VALU_DEP_1)
	s_or_b32 exec_lo, exec_lo, s43
	v_dual_mov_b32 v87, 0 :: v_dual_bitop2_b32 v11, 15, v34 bitop3:0x40
	s_mov_b32 s17, 0
	s_mov_b32 s18, exec_lo
                                        ; implicit-def: $vgpr103
                                        ; implicit-def: $vgpr10
	v_cndmask_b32_e64 v102, v47, v11, s16
	s_delay_alu instid0(VALU_DEP_1)
	v_cmpx_ne_u32_e32 0, v102
	s_cbranch_execz .LBB12_225
; %bb.224:                              ;   in Loop: Header=BB12_77 Depth=1
	v_cmp_lt_i32_e32 vcc_lo, 0, v56
	s_mov_b32 s17, exec_lo
	v_dual_cndmask_b32 v10, 0, v36 :: v_dual_sub_nc_u32 v11, v47, v11
	s_delay_alu instid0(VALU_DEP_1) | instskip(NEXT) | instid1(VALU_DEP_1)
	v_dual_cndmask_b32 v11, 0, v11, s16 :: v_dual_sub_nc_u32 v10, v10, v56
	v_add3_u32 v87, v45, v44, v11
	s_delay_alu instid0(VALU_DEP_2) | instskip(NEXT) | instid1(VALU_DEP_1)
	v_lshl_add_u32 v103, v10, 5, v46
	v_ashrrev_i32_e32 v10, 31, v103
	s_delay_alu instid0(VALU_DEP_1) | instskip(NEXT) | instid1(VALU_DEP_1)
	v_lshrrev_b32_e32 v10, 27, v10
	v_add_nc_u32_e32 v10, v103, v10
	s_delay_alu instid0(VALU_DEP_1)
	v_ashrrev_i32_e32 v10, 5, v10
.LBB12_225:                             ;   in Loop: Header=BB12_77 Depth=1
	s_or_b32 exec_lo, exec_lo, s18
	s_delay_alu instid0(SALU_CYCLE_1)
	s_and_b32 s16, s17, exec_lo
.LBB12_226:                             ;   in Loop: Header=BB12_77 Depth=1
	s_or_b32 exec_lo, exec_lo, s19
.LBB12_227:                             ;   in Loop: Header=BB12_77 Depth=1
	s_and_saveexec_b32 s20, s16
	s_cbranch_execz .LBB12_238
; %bb.228:                              ;   in Loop: Header=BB12_77 Depth=1
	v_dual_ashrrev_i32 v11, 31, v102 :: v_dual_ashrrev_i32 v113, 31, v103
	s_mov_b32 s16, exec_lo
	s_delay_alu instid0(VALU_DEP_1) | instskip(NEXT) | instid1(VALU_DEP_1)
	v_lshrrev_b32_e32 v11, 22, v11
	v_add_nc_u32_e32 v11, v102, v11
	s_delay_alu instid0(VALU_DEP_1) | instskip(NEXT) | instid1(VALU_DEP_1)
	v_ashrrev_i32_e32 v114, 10, v11
	v_sub_nc_u32_e32 v112, v114, v10
	s_delay_alu instid0(VALU_DEP_1)
	v_cmpx_lt_i32_e32 0, v112
	s_cbranch_execz .LBB12_232
; %bb.229:                              ;   in Loop: Header=BB12_77 Depth=1
	v_dual_lshrrev_b32 v11, 27, v113 :: v_dual_lshlrev_b32 v10, 10, v10
	v_add_nc_u64_e32 v[46:47], 0x3e0, v[96:97]
	s_mov_b32 s17, 0
	s_delay_alu instid0(VALU_DEP_2) | instskip(NEXT) | instid1(VALU_DEP_1)
	v_add_nc_u32_e32 v11, v103, v11
	v_and_b32_e32 v11, 0xffffffe0, v11
	s_delay_alu instid0(VALU_DEP_1) | instskip(NEXT) | instid1(VALU_DEP_1)
	v_sub_nc_u32_e32 v11, v103, v11
	v_add3_u32 v44, v87, v11, v10
	s_delay_alu instid0(VALU_DEP_1) | instskip(NEXT) | instid1(VALU_DEP_1)
	v_ashrrev_i32_e32 v45, 31, v44
	v_add_nc_u64_e32 v[10:11], v[44:45], v[98:99]
	v_add_nc_u64_e32 v[12:13], v[44:45], v[100:101]
	;; [unrolled: 1-line block ×3, first 2 shown]
.LBB12_230:                             ;   Parent Loop BB12_77 Depth=1
                                        ; =>  This Inner Loop Header: Depth=2
	s_clause 0x1f
	flat_load_u8 v115, v[100:101] offset:-992 th:TH_LOAD_NT
	flat_load_u8 v44, v[100:101] offset:-960 th:TH_LOAD_NT
	;; [unrolled: 1-line block ×31, first 2 shown]
	flat_load_u8 v106, v[100:101] th:TH_LOAD_NT
	v_sub_nc_u32_e32 v112, v112, v36
	s_wait_xcnt 0x0
	v_add_nc_u64_e32 v[100:101], v[100:101], v[54:55]
	s_wait_loadcnt_dscnt 0x1f1f
	flat_store_b8 v[10:11], v115 th:TH_STORE_NT
	s_wait_loadcnt_dscnt 0x1e1f
	flat_store_b8 v[10:11], v44 offset:32 th:TH_STORE_NT
	s_wait_loadcnt_dscnt 0x1d1f
	flat_store_b8 v[10:11], v45 offset:64 th:TH_STORE_NT
	;; [unrolled: 2-line block ×31, first 2 shown]
	s_clause 0x1f
	flat_store_b8 v[12:13], v115 th:TH_STORE_NT
	flat_store_b8 v[12:13], v44 offset:32 th:TH_STORE_NT
	flat_store_b8 v[12:13], v45 offset:64 th:TH_STORE_NT
	;; [unrolled: 1-line block ×31, first 2 shown]
	v_cmp_gt_i32_e32 vcc_lo, 1, v112
	s_wait_xcnt 0x20
	v_add_nc_u64_e32 v[10:11], v[10:11], v[54:55]
	s_wait_xcnt 0x0
	v_add_nc_u64_e32 v[12:13], v[12:13], v[54:55]
	s_or_b32 s17, vcc_lo, s17
	s_delay_alu instid0(SALU_CYCLE_1)
	s_and_not1_b32 exec_lo, exec_lo, s17
	s_cbranch_execnz .LBB12_230
; %bb.231:                              ;   in Loop: Header=BB12_77 Depth=1
	s_or_b32 exec_lo, exec_lo, s17
.LBB12_232:                             ;   in Loop: Header=BB12_77 Depth=1
	s_delay_alu instid0(SALU_CYCLE_1) | instskip(SKIP_1) | instid1(VALU_DEP_1)
	s_or_b32 exec_lo, exec_lo, s16
	v_lshlrev_b32_e32 v10, 10, v114
	v_cmp_ne_u32_e32 vcc_lo, v102, v10
	s_and_b32 exec_lo, exec_lo, vcc_lo
	s_cbranch_execz .LBB12_238
; %bb.233:                              ;   in Loop: Header=BB12_77 Depth=1
	v_dual_lshrrev_b32 v11, 27, v113 :: v_dual_lshlrev_b32 v12, 5, v112
	s_delay_alu instid0(VALU_DEP_1) | instskip(NEXT) | instid1(VALU_DEP_1)
	v_add_nc_u32_e32 v11, v103, v11
	v_and_b32_e32 v11, 0xffffffe0, v11
	s_delay_alu instid0(VALU_DEP_1) | instskip(NEXT) | instid1(VALU_DEP_1)
	v_sub_nc_u32_e32 v11, v103, v11
	v_sub_nc_u32_e32 v11, v11, v12
	s_delay_alu instid0(VALU_DEP_1) | instskip(NEXT) | instid1(VALU_DEP_1)
	v_add_nc_u32_e32 v10, v10, v11
	v_sub_nc_u32_e32 v102, v102, v10
	s_delay_alu instid0(VALU_DEP_1)
	v_cmp_lt_i32_e32 vcc_lo, 0, v102
	s_and_b32 exec_lo, exec_lo, vcc_lo
	s_cbranch_execz .LBB12_238
; %bb.234:                              ;   in Loop: Header=BB12_77 Depth=1
	s_trap 2
	ds_load_b64 v[12:13], v0
	ds_load_b128 v[112:115], v0
	v_add_nc_u32_e32 v100, v10, v87
	s_mov_b32 s21, 0
	s_delay_alu instid0(VALU_DEP_1) | instskip(SKIP_1) | instid1(VALU_DEP_1)
	v_ashrrev_i32_e32 v101, 31, v100
	s_wait_dscnt 0x1
	v_add_nc_u64_e32 v[10:11], v[12:13], v[100:101]
	s_wait_dscnt 0x0
	v_add_nc_u64_e32 v[12:13], v[112:113], v[100:101]
	v_add_nc_u64_e32 v[100:101], v[114:115], v[100:101]
.LBB12_235:                             ;   Parent Loop BB12_77 Depth=1
                                        ; =>  This Loop Header: Depth=2
                                        ;       Child Loop BB12_236 Depth 3
	flat_load_u8 v87, v[10:11] th:TH_LOAD_NT
	s_mov_b64 s[18:19], 0
	s_mov_b32 s43, -1
.LBB12_236:                             ;   Parent Loop BB12_77 Depth=1
                                        ;     Parent Loop BB12_235 Depth=2
                                        ; =>    This Inner Loop Header: Depth=3
	s_cmp_eq_u32 s18, 1
	s_cselect_b32 vcc_lo, -1, 0
	s_cmp_eq_u32 s18, 0
	s_wait_xcnt 0x0
	v_dual_cndmask_b32 v113, v13, v101 :: v_dual_cndmask_b32 v112, v12, v100
	s_cselect_b32 s16, -1, 0
	s_and_b32 s17, exec_lo, s43
	s_mov_b64 s[18:19], 1
	s_mov_b32 s43, 0
	v_add_nc_u64_e32 v[114:115], 32, v[112:113]
	s_wait_loadcnt_dscnt 0x0
	flat_store_b8 v[112:113], v87 th:TH_STORE_NT
	v_dual_cndmask_b32 v101, v101, v115 :: v_dual_cndmask_b32 v100, v100, v114
	v_dual_cndmask_b32 v13, v13, v115, s16 :: v_dual_cndmask_b32 v12, v12, v114, s16
	s_mov_b32 vcc_lo, s17
	s_cbranch_vccnz .LBB12_236
; %bb.237:                              ;   in Loop: Header=BB12_235 Depth=2
	v_sub_nc_u32_e32 v102, v102, v1
	s_delay_alu instid0(VALU_DEP_2)
	v_add_nc_u64_e32 v[12:13], v[12:13], v[64:65]
	v_add_nc_u64_e32 v[100:101], v[100:101], v[64:65]
	s_wait_xcnt 0x1
	v_add_nc_u64_e32 v[10:11], v[80:81], v[10:11]
	v_cmp_gt_i32_e32 vcc_lo, 1, v102
	s_or_b32 s21, vcc_lo, s21
	s_wait_xcnt 0x0
	s_and_not1_b32 exec_lo, exec_lo, s21
	s_cbranch_execnz .LBB12_235
.LBB12_238:                             ;   in Loop: Header=BB12_77 Depth=1
	s_or_b32 exec_lo, exec_lo, s20
	s_mov_b32 s16, 0
.LBB12_239:                             ;   in Loop: Header=BB12_77 Depth=1
	s_delay_alu instid0(SALU_CYCLE_1)
	s_and_b32 vcc_lo, exec_lo, s16
	s_cbranch_vccz .LBB12_268
; %bb.240:                              ;   in Loop: Header=BB12_77 Depth=1
	s_mov_b32 s16, -1
	s_and_saveexec_b32 s17, s10
	s_cbranch_execz .LBB12_242
; %bb.241:                              ;   in Loop: Header=BB12_77 Depth=1
	ds_load_b32 v10, v0 offset:720
	s_wait_dscnt 0x0
	v_and_b32_e32 v10, 15, v10
	s_delay_alu instid0(VALU_DEP_1)
	v_cmp_eq_u32_e32 vcc_lo, 0, v10
	s_or_not1_b32 s16, vcc_lo, exec_lo
.LBB12_242:                             ;   in Loop: Header=BB12_77 Depth=1
	s_or_b32 exec_lo, exec_lo, s17
	s_and_saveexec_b32 s17, s13
	s_cbranch_execz .LBB12_244
; %bb.243:                              ;   in Loop: Header=BB12_77 Depth=1
	ds_load_b32 v10, v0 offset:784
	s_wait_dscnt 0x0
	v_and_b32_e32 v10, 15, v10
	s_delay_alu instid0(VALU_DEP_1) | instskip(SKIP_3) | instid1(SALU_CYCLE_1)
	v_cmp_eq_u32_e32 vcc_lo, 0, v10
	s_and_b32 s18, s16, vcc_lo
	s_and_not1_b32 s16, s16, exec_lo
	s_and_b32 s18, s18, exec_lo
	s_or_b32 s16, s16, s18
.LBB12_244:                             ;   in Loop: Header=BB12_77 Depth=1
	s_or_b32 exec_lo, exec_lo, s17
	s_xor_b32 s16, s16, -1
	v_dual_mov_b32 v12, 0 :: v_dual_mov_b32 v13, v34
	v_cndmask_b32_e64 v10, 0, 1, s16
	v_mov_b32_e32 v87, v0
	s_mov_b32 s18, -1
	s_delay_alu instid0(VALU_DEP_2)
	v_cmp_ne_u32_e32 vcc_lo, 0, v10
	v_mov_b32_e32 v10, v41
	s_cbranch_vccnz .LBB12_258
; %bb.245:                              ;   in Loop: Header=BB12_77 Depth=1
	v_ashrrev_i32_e32 v10, 31, v34
	s_mov_b32 s16, exec_lo
	s_delay_alu instid0(VALU_DEP_1) | instskip(NEXT) | instid1(VALU_DEP_1)
	v_lshrrev_b32_e32 v10, 20, v10
	v_add_nc_u32_e32 v10, v34, v10
	s_delay_alu instid0(VALU_DEP_1) | instskip(NEXT) | instid1(VALU_DEP_1)
	v_ashrrev_i32_e32 v87, 12, v10
	v_sub_nc_u32_e32 v101, v87, v41
	s_delay_alu instid0(VALU_DEP_1)
	v_cmpx_lt_i32_e32 0, v101
	s_cbranch_execz .LBB12_249
; %bb.246:                              ;   in Loop: Header=BB12_77 Depth=1
	v_mov_b64_e32 v[10:11], v[98:99]
	v_mov_b64_e32 v[12:13], v[96:97]
	s_mov_b32 s17, 0
.LBB12_247:                             ;   Parent Loop BB12_77 Depth=1
                                        ; =>  This Inner Loop Header: Depth=2
	s_delay_alu instid0(VALU_DEP_1)
	v_add_nc_u64_e32 v[102:103], v[84:85], v[12:13]
	v_sub_nc_u32_e32 v101, v101, v36
	v_add_nc_u64_e32 v[12:13], v[12:13], v[66:67]
	s_clause 0x7
	global_load_b128 v[112:115], v[102:103], off th:TH_LOAD_NT
	global_load_b128 v[44:47], v[102:103], off offset:512 th:TH_LOAD_NT
	global_load_b128 v[56:59], v[102:103], off offset:1024 th:TH_LOAD_NT
	;; [unrolled: 1-line block ×7, first 2 shown]
	s_wait_xcnt 0x0
	v_add_nc_u64_e32 v[102:103], v[84:85], v[10:11]
	v_add_nc_u64_e32 v[10:11], v[10:11], v[66:67]
	v_cmp_gt_i32_e32 vcc_lo, 1, v101
	s_wait_loadcnt 0x7
	global_store_b128 v[102:103], v[112:115], off th:TH_STORE_NT
	s_wait_loadcnt 0x6
	global_store_b128 v[102:103], v[44:47], off offset:512 th:TH_STORE_NT
	s_wait_loadcnt 0x5
	global_store_b128 v[102:103], v[56:59], off offset:1024 th:TH_STORE_NT
	;; [unrolled: 2-line block ×7, first 2 shown]
	s_or_b32 s17, vcc_lo, s17
	s_wait_xcnt 0x0
	s_and_not1_b32 exec_lo, exec_lo, s17
	s_cbranch_execnz .LBB12_247
; %bb.248:                              ;   in Loop: Header=BB12_77 Depth=1
	s_or_b32 exec_lo, exec_lo, s17
.LBB12_249:                             ;   in Loop: Header=BB12_77 Depth=1
	s_delay_alu instid0(SALU_CYCLE_1) | instskip(SKIP_3) | instid1(VALU_DEP_1)
	s_or_b32 exec_lo, exec_lo, s16
	v_dual_lshlrev_b32 v100, 12, v87 :: v_dual_mov_b32 v12, 0
	s_mov_b32 s18, 0
	s_mov_b32 s17, exec_lo
                                        ; implicit-def: $vgpr13
                                        ; implicit-def: $vgpr87
                                        ; implicit-def: $vgpr10
	v_cmpx_ne_u32_e64 v34, v100
	s_cbranch_execz .LBB12_257
; %bb.250:                              ;   in Loop: Header=BB12_77 Depth=1
	v_dual_lshlrev_b32 v10, 5, v101 :: v_dual_sub_nc_u32 v12, v34, v100
	s_mov_b32 s18, exec_lo
	s_delay_alu instid0(VALU_DEP_1) | instskip(NEXT) | instid1(VALU_DEP_1)
	v_dual_sub_nc_u32 v10, v42, v10 :: v_dual_ashrrev_i32 v13, 31, v12
	v_dual_ashrrev_i32 v11, 31, v10 :: v_dual_lshrrev_b32 v13, 23, v13
	s_delay_alu instid0(VALU_DEP_1) | instskip(NEXT) | instid1(VALU_DEP_1)
	v_lshrrev_b32_e32 v11, 27, v11
	v_add_nc_u32_e32 v11, v10, v11
	s_delay_alu instid0(VALU_DEP_1) | instskip(NEXT) | instid1(VALU_DEP_1)
	v_and_b32_e32 v87, 0xffffffe0, v11
	v_dual_add_nc_u32 v13, v12, v13 :: v_dual_sub_nc_u32 v102, v10, v87
	s_delay_alu instid0(VALU_DEP_1) | instskip(SKIP_1) | instid1(VALU_DEP_3)
	v_and_b32_e32 v101, 0xfffffe00, v13
	v_dual_ashrrev_i32 v11, 5, v11 :: v_dual_ashrrev_i32 v13, 9, v13
	v_lshlrev_b32_e32 v10, 4, v102
	s_delay_alu instid0(VALU_DEP_1) | instskip(NEXT) | instid1(VALU_DEP_1)
	v_lshl_add_u32 v10, v11, 9, v10
	v_dual_sub_nc_u32 v103, v12, v101 :: v_dual_sub_nc_u32 v12, v12, v10
	s_delay_alu instid0(VALU_DEP_1) | instskip(SKIP_1) | instid1(VALU_DEP_1)
	v_cmp_lt_i32_e32 vcc_lo, 15, v103
	v_add_co_ci_u32_e64 v13, null, 0, v13, vcc_lo
	v_sub_nc_u32_e32 v112, v13, v11
	s_delay_alu instid0(VALU_DEP_4)
	v_cmpx_lt_i32_e32 15, v12
	s_cbranch_execz .LBB12_254
; %bb.251:                              ;   in Loop: Header=BB12_77 Depth=1
	v_add_nc_u32_e32 v10, v10, v100
	s_mov_b32 s19, 0
	s_delay_alu instid0(VALU_DEP_1)
	v_ashrrev_i32_e32 v11, 31, v10
.LBB12_252:                             ;   Parent Loop BB12_77 Depth=1
                                        ; =>  This Inner Loop Header: Depth=2
	s_delay_alu instid0(VALU_DEP_1) | instskip(SKIP_2) | instid1(VALU_DEP_2)
	v_add_nc_u64_e32 v[114:115], v[96:97], v[10:11]
	v_sub_nc_u32_e32 v12, v12, v40
	v_sub_nc_u32_e32 v112, v112, v36
	v_cmp_gt_i32_e64 s16, 16, v12
	global_load_b128 v[44:47], v[114:115], off th:TH_LOAD_NT
	s_wait_xcnt 0x0
	v_add_nc_u64_e32 v[114:115], v[98:99], v[10:11]
	v_add_nc_u64_e32 v[10:11], v[10:11], v[82:83]
	s_or_b32 s19, s16, s19
	s_wait_loadcnt 0x0
	global_store_b128 v[114:115], v[44:47], off th:TH_STORE_NT
	s_wait_xcnt 0x0
	s_and_not1_b32 exec_lo, exec_lo, s19
	s_cbranch_execnz .LBB12_252
; %bb.253:                              ;   in Loop: Header=BB12_77 Depth=1
	s_or_b32 exec_lo, exec_lo, s19
.LBB12_254:                             ;   in Loop: Header=BB12_77 Depth=1
	s_delay_alu instid0(SALU_CYCLE_1) | instskip(SKIP_3) | instid1(VALU_DEP_1)
	s_or_b32 exec_lo, exec_lo, s18
	v_dual_mov_b32 v12, 0 :: v_dual_bitop2_b32 v11, 15, v34 bitop3:0x40
	s_mov_b32 s18, 0
	s_mov_b32 s19, exec_lo
                                        ; implicit-def: $vgpr87
                                        ; implicit-def: $vgpr10
	v_cndmask_b32_e32 v13, v103, v11, vcc_lo
	s_delay_alu instid0(VALU_DEP_1)
	v_cmpx_ne_u32_e32 0, v13
	s_cbranch_execz .LBB12_256
; %bb.255:                              ;   in Loop: Header=BB12_77 Depth=1
	v_cmp_lt_i32_e64 s16, 0, v112
	s_mov_b32 s18, exec_lo
	v_dual_sub_nc_u32 v11, v103, v11 :: v_dual_cndmask_b32 v10, 0, v36, s16
	s_delay_alu instid0(VALU_DEP_1) | instskip(NEXT) | instid1(VALU_DEP_1)
	v_dual_cndmask_b32 v11, 0, v11 :: v_dual_sub_nc_u32 v10, v10, v112
	v_add3_u32 v12, v101, v100, v11
	s_delay_alu instid0(VALU_DEP_2) | instskip(NEXT) | instid1(VALU_DEP_1)
	v_lshl_add_u32 v87, v10, 5, v102
	v_ashrrev_i32_e32 v10, 31, v87
	s_delay_alu instid0(VALU_DEP_1) | instskip(NEXT) | instid1(VALU_DEP_1)
	v_lshrrev_b32_e32 v10, 27, v10
	v_add_nc_u32_e32 v10, v87, v10
	s_delay_alu instid0(VALU_DEP_1)
	v_ashrrev_i32_e32 v10, 5, v10
.LBB12_256:                             ;   in Loop: Header=BB12_77 Depth=1
	s_or_b32 exec_lo, exec_lo, s19
	s_delay_alu instid0(SALU_CYCLE_1)
	s_and_b32 s18, s18, exec_lo
.LBB12_257:                             ;   in Loop: Header=BB12_77 Depth=1
	s_or_b32 exec_lo, exec_lo, s17
.LBB12_258:                             ;   in Loop: Header=BB12_77 Depth=1
	s_and_saveexec_b32 s16, s18
	s_cbranch_execz .LBB12_267
; %bb.259:                              ;   in Loop: Header=BB12_77 Depth=1
	v_ashrrev_i32_e32 v11, 31, v13
	s_mov_b32 s17, exec_lo
	s_delay_alu instid0(VALU_DEP_1) | instskip(NEXT) | instid1(VALU_DEP_1)
	v_lshrrev_b32_e32 v11, 22, v11
	v_add_nc_u32_e32 v11, v13, v11
	s_delay_alu instid0(VALU_DEP_1) | instskip(NEXT) | instid1(VALU_DEP_1)
	v_ashrrev_i32_e32 v101, 10, v11
	v_sub_nc_u32_e32 v100, v101, v10
	s_delay_alu instid0(VALU_DEP_1)
	v_cmpx_lt_i32_e32 0, v100
	s_cbranch_execz .LBB12_263
; %bb.260:                              ;   in Loop: Header=BB12_77 Depth=1
	v_dual_ashrrev_i32 v11, 31, v87 :: v_dual_lshlrev_b32 v10, 10, v10
	s_mov_b32 s18, 0
	s_delay_alu instid0(VALU_DEP_1) | instskip(NEXT) | instid1(VALU_DEP_1)
	v_lshrrev_b32_e32 v11, 27, v11
	v_add_nc_u32_e32 v11, v87, v11
	s_delay_alu instid0(VALU_DEP_1) | instskip(NEXT) | instid1(VALU_DEP_1)
	v_and_b32_e32 v11, 0xffffffe0, v11
	v_sub_nc_u32_e32 v11, v87, v11
	s_delay_alu instid0(VALU_DEP_1) | instskip(NEXT) | instid1(VALU_DEP_1)
	v_add3_u32 v10, v12, v11, v10
	v_ashrrev_i32_e32 v11, 31, v10
.LBB12_261:                             ;   Parent Loop BB12_77 Depth=1
                                        ; =>  This Inner Loop Header: Depth=2
	s_delay_alu instid0(VALU_DEP_1)
	v_add_nc_u64_e32 v[102:103], v[10:11], v[96:97]
	v_sub_nc_u32_e32 v100, v100, v36
	v_add_nc_u64_e32 v[96:97], v[96:97], v[54:55]
	s_clause 0x1f
	flat_load_u8 v112, v[102:103] th:TH_LOAD_NT
	flat_load_u8 v113, v[102:103] offset:32 th:TH_LOAD_NT
	flat_load_u8 v114, v[102:103] offset:64 th:TH_LOAD_NT
	;; [unrolled: 1-line block ×31, first 2 shown]
	s_wait_xcnt 0x0
	v_add_nc_u64_e32 v[102:103], v[10:11], v[98:99]
	v_add_nc_u64_e32 v[98:99], v[98:99], v[54:55]
	v_cmp_gt_i32_e32 vcc_lo, 1, v100
	s_wait_loadcnt_dscnt 0x1f1f
	flat_store_b8 v[102:103], v112 th:TH_STORE_NT
	s_wait_loadcnt_dscnt 0x1e1f
	flat_store_b8 v[102:103], v113 offset:32 th:TH_STORE_NT
	s_wait_loadcnt_dscnt 0x1d1f
	flat_store_b8 v[102:103], v114 offset:64 th:TH_STORE_NT
	;; [unrolled: 2-line block ×31, first 2 shown]
	s_or_b32 s18, vcc_lo, s18
	s_wait_xcnt 0x0
	s_and_not1_b32 exec_lo, exec_lo, s18
	s_cbranch_execnz .LBB12_261
; %bb.262:                              ;   in Loop: Header=BB12_77 Depth=1
	s_or_b32 exec_lo, exec_lo, s18
.LBB12_263:                             ;   in Loop: Header=BB12_77 Depth=1
	s_delay_alu instid0(SALU_CYCLE_1) | instskip(SKIP_1) | instid1(VALU_DEP_1)
	s_or_b32 exec_lo, exec_lo, s17
	v_lshlrev_b32_e32 v10, 10, v101
	v_cmp_ne_u32_e32 vcc_lo, v13, v10
	s_and_b32 exec_lo, exec_lo, vcc_lo
	s_cbranch_execz .LBB12_267
; %bb.264:                              ;   in Loop: Header=BB12_77 Depth=1
	v_ashrrev_i32_e32 v11, 31, v87
	s_delay_alu instid0(VALU_DEP_1) | instskip(NEXT) | instid1(VALU_DEP_1)
	v_lshrrev_b32_e32 v11, 27, v11
	v_add_nc_u32_e32 v11, v87, v11
	s_delay_alu instid0(VALU_DEP_1) | instskip(NEXT) | instid1(VALU_DEP_1)
	v_and_b32_e32 v11, 0xffffffe0, v11
	v_dual_sub_nc_u32 v11, v87, v11 :: v_dual_lshlrev_b32 v87, 5, v100
	s_delay_alu instid0(VALU_DEP_1) | instskip(NEXT) | instid1(VALU_DEP_1)
	v_sub_nc_u32_e32 v11, v11, v87
	v_add_nc_u32_e32 v96, v10, v11
	s_delay_alu instid0(VALU_DEP_1) | instskip(NEXT) | instid1(VALU_DEP_1)
	v_sub_nc_u32_e32 v87, v13, v96
	v_cmp_lt_i32_e32 vcc_lo, 0, v87
	s_and_b32 exec_lo, exec_lo, vcc_lo
	s_cbranch_execz .LBB12_267
; %bb.265:                              ;   in Loop: Header=BB12_77 Depth=1
	s_trap 2
	ds_load_b64 v[10:11], v0
	v_add_nc_u32_e32 v12, v96, v12
	s_mov_b32 s17, 0
	s_delay_alu instid0(VALU_DEP_1)
	v_ashrrev_i32_e32 v13, 31, v12
.LBB12_266:                             ;   Parent Loop BB12_77 Depth=1
                                        ; =>  This Inner Loop Header: Depth=2
	s_wait_dscnt 0x0
	s_delay_alu instid0(VALU_DEP_1) | instskip(SKIP_2) | instid1(VALU_DEP_2)
	v_add_nc_u64_e32 v[96:97], v[10:11], v[12:13]
	v_sub_nc_u32_e32 v87, v87, v1
	v_add_nc_u64_e32 v[12:13], v[12:13], v[80:81]
	v_cmp_gt_i32_e32 vcc_lo, 1, v87
	flat_load_u8 v98, v[96:97] th:TH_LOAD_NT
	s_or_b32 s17, vcc_lo, s17
	s_wait_loadcnt_dscnt 0x0
	flat_store_b8 v[96:97], v98 th:TH_STORE_NT
	s_wait_xcnt 0x0
	s_and_not1_b32 exec_lo, exec_lo, s17
	s_cbranch_execnz .LBB12_266
.LBB12_267:                             ;   in Loop: Header=BB12_77 Depth=1
	s_or_b32 exec_lo, exec_lo, s16
.LBB12_268:                             ;   in Loop: Header=BB12_77 Depth=1
	v_cmp_lt_i32_e64 s16, 0, v34
	s_and_saveexec_b32 s17, s3
	s_cbranch_execnz .LBB12_274
.LBB12_269:                             ;   in Loop: Header=BB12_77 Depth=1
	s_or_b32 exec_lo, exec_lo, s17
                                        ; implicit-def: $vgpr10
	s_and_saveexec_b32 s17, s12
	s_delay_alu instid0(SALU_CYCLE_1)
	s_xor_b32 s17, exec_lo, s17
	s_cbranch_execz .LBB12_380
.LBB12_270:                             ;   in Loop: Header=BB12_77 Depth=1
	v_and_b32_e32 v10, 16, v116
	s_delay_alu instid0(VALU_DEP_1) | instskip(SKIP_2) | instid1(SALU_CYCLE_1)
	v_cmp_ne_u32_e32 vcc_lo, 0, v10
	v_and_b32_e32 v10, 16, v116
	s_and_b32 s18, vcc_lo, s16
	s_and_saveexec_b32 s16, s18
	s_cbranch_execz .LBB12_272
; %bb.271:                              ;   in Loop: Header=BB12_77 Depth=1
	v_mov_b32_e32 v10, 1
	global_wb scope:SCOPE_SYS
	s_wait_storecnt 0x0
	s_wait_loadcnt_dscnt 0x0
	global_inv scope:SCOPE_SYS
.LBB12_272:                             ;   in Loop: Header=BB12_77 Depth=1
	s_or_b32 exec_lo, exec_lo, s16
	s_and_not1_saveexec_b32 s16, s17
	s_cbranch_execz .LBB12_418
	s_branch .LBB12_381
.LBB12_273:                             ;   in Loop: Header=BB12_77 Depth=1
	s_mov_b32 s16, 0
	s_and_saveexec_b32 s17, s3
	s_cbranch_execz .LBB12_269
.LBB12_274:                             ;   in Loop: Header=BB12_77 Depth=1
	s_and_saveexec_b32 s18, s4
	s_delay_alu instid0(SALU_CYCLE_1)
	s_xor_b32 s18, exec_lo, s18
	s_cbranch_execz .LBB12_377
; %bb.275:                              ;   in Loop: Header=BB12_77 Depth=1
	s_and_saveexec_b32 s19, s7
	s_cbranch_execz .LBB12_376
; %bb.276:                              ;   in Loop: Header=BB12_77 Depth=1
	s_mov_b32 s21, exec_lo
	s_mov_b32 s20, exec_lo
	v_mbcnt_lo_u32_b32 v10, s21, 0
	global_wb scope:SCOPE_DEV
	s_wait_storecnt 0x0
	s_wait_loadcnt_dscnt 0x0
	global_inv scope:SCOPE_DEV
	v_cmpx_eq_u32_e32 0, v10
	s_cbranch_execz .LBB12_278
; %bb.277:                              ;   in Loop: Header=BB12_77 Depth=1
	s_bcnt1_i32_b32 s21, s21
	s_delay_alu instid0(SALU_CYCLE_1)
	v_mov_b32_e32 v34, s21
	s_wait_loadcnt 0x0
	ds_add_u64 v0, v[34:35]
	s_trap 2
.LBB12_278:                             ;   in Loop: Header=BB12_77 Depth=1
	s_or_b32 exec_lo, exec_lo, s20
	s_trap 2
	ds_load_b64 v[10:11], v0
	s_wait_dscnt 0x0
	v_add_nc_u64_e32 v[26:27], v[26:27], v[36:37]
	s_mov_b32 s20, exec_lo
	s_delay_alu instid0(VALU_DEP_1)
	v_cmpx_lt_u64_e64 v[10:11], v[26:27]
	s_cbranch_execz .LBB12_375
; %bb.279:                              ;   in Loop: Header=BB12_77 Depth=1
	s_mov_b32 s21, 0
	s_mov_b32 s45, 0
                                        ; implicit-def: $sgpr43
                                        ; implicit-def: $sgpr44
	s_branch .LBB12_281
.LBB12_280:                             ;   in Loop: Header=BB12_281 Depth=2
	s_or_b32 exec_lo, exec_lo, s47
	s_delay_alu instid0(SALU_CYCLE_1) | instskip(NEXT) | instid1(SALU_CYCLE_1)
	s_and_b32 s46, exec_lo, s56
	s_or_b32 s21, s46, s21
	s_and_not1_b32 s43, s43, exec_lo
	s_and_b32 s46, s44, exec_lo
	s_delay_alu instid0(SALU_CYCLE_1)
	s_or_b32 s43, s43, s46
	s_and_not1_b32 exec_lo, exec_lo, s21
	s_cbranch_execz .LBB12_373
.LBB12_281:                             ;   Parent Loop BB12_77 Depth=1
                                        ; =>  This Inner Loop Header: Depth=2
	s_add_co_i32 s45, s45, 1
	s_delay_alu instid0(SALU_CYCLE_1) | instskip(SKIP_1) | instid1(SALU_CYCLE_1)
	s_cmp_lg_u32 s45, 0x2710
	s_cselect_b32 s46, -1, 0
	s_and_b32 vcc_lo, exec_lo, s46
	s_cbranch_vccz .LBB12_283
; %bb.282:                              ;   in Loop: Header=BB12_281 Depth=2
	s_mov_b32 s56, -1
	s_or_b32 s44, s44, exec_lo
	s_and_saveexec_b32 s47, s46
	s_cbranch_execz .LBB12_280
	s_branch .LBB12_284
.LBB12_283:                             ;   in Loop: Header=BB12_281 Depth=2
	s_trap 2
	ds_load_b64 v[10:11], v0
	s_and_not1_b32 s46, s46, exec_lo
	s_mov_b32 s45, 0
	s_wait_loadcnt_dscnt 0x0
	flat_load_b32 v10, v[10:11] scope:SCOPE_SYS
	s_wait_loadcnt_dscnt 0x0
	global_inv scope:SCOPE_SYS
	v_cmp_eq_u32_e32 vcc_lo, 0, v10
	s_and_b32 s47, vcc_lo, exec_lo
	s_delay_alu instid0(SALU_CYCLE_1)
	s_or_b32 s46, s46, s47
	s_mov_b32 s56, -1
	s_or_b32 s44, s44, exec_lo
	s_and_saveexec_b32 s47, s46
	s_cbranch_execz .LBB12_280
.LBB12_284:                             ;   in Loop: Header=BB12_281 Depth=2
	s_sleep 1
	s_trap 2
	ds_load_b64 v[10:11], v0
	s_wait_dscnt 0x0
	s_and_not1_b32 s44, s44, exec_lo
	v_cmp_ge_u64_e32 vcc_lo, v[10:11], v[26:27]
	s_or_not1_b32 s56, vcc_lo, exec_lo
	s_branch .LBB12_280
.LBB12_285:                             ;   in Loop: Header=BB12_77 Depth=1
	s_or_b32 exec_lo, exec_lo, s20
	s_and_saveexec_b32 s20, s21
	s_delay_alu instid0(SALU_CYCLE_1)
	s_xor_b32 s20, exec_lo, s20
	s_cbranch_execz .LBB12_287
; %bb.286:                              ;   in Loop: Header=BB12_77 Depth=1
	ds_store_b32 v0, v118
	s_trap 2
.LBB12_287:                             ;   in Loop: Header=BB12_77 Depth=1
	s_or_b32 exec_lo, exec_lo, s19
	;;#ASMSTART
	s_wakeup
	;;#ASMEND
.LBB12_288:                             ;   in Loop: Header=BB12_77 Depth=1
	s_or_b32 exec_lo, exec_lo, s18
.LBB12_289:                             ;   in Loop: Header=BB12_77 Depth=1
	s_and_not1_saveexec_b32 s17, s17
	s_cbranch_execz .LBB12_291
; %bb.290:                              ;   in Loop: Header=BB12_77 Depth=1
	global_wb scope:SCOPE_DEV
	s_wait_storecnt 0x0
	s_wait_loadcnt_dscnt 0x0
	global_inv scope:SCOPE_DEV
	s_barrier_signal -1
	s_barrier_wait -1
.LBB12_291:                             ;   in Loop: Header=BB12_77 Depth=1
	s_or_b32 exec_lo, exec_lo, s17
.LBB12_292:                             ;   in Loop: Header=BB12_77 Depth=1
	s_delay_alu instid0(SALU_CYCLE_1)
	s_or_b32 exec_lo, exec_lo, s16
	s_trap 2
	ds_load_b64 v[96:97], v0
	s_wait_dscnt 0x0
	v_cmp_eq_u64_e32 vcc_lo, 0, v[96:97]
	s_cbranch_vccnz .LBB12_361
; %bb.293:                              ;   in Loop: Header=BB12_77 Depth=1
	s_trap 2
	ds_load_b64 v[98:99], v0
	s_wait_dscnt 0x0
	v_cmp_eq_u64_e32 vcc_lo, 0, v[98:99]
	s_cbranch_vccnz .LBB12_361
; %bb.294:                              ;   in Loop: Header=BB12_77 Depth=1
	s_trap 2
	ds_load_b64 v[100:101], v0
	v_cmp_eq_u32_e64 s16, 0, v10
	s_delay_alu instid0(VALU_DEP_1)
	v_cndmask_b32_e64 v34, 0, v86, s16
	s_mov_b32 s16, -1
	s_wait_dscnt 0x0
	v_cmp_ne_u64_e32 vcc_lo, 0, v[100:101]
	s_cbranch_vccz .LBB12_327
; %bb.295:                              ;   in Loop: Header=BB12_77 Depth=1
	s_and_saveexec_b32 s17, s13
	s_cbranch_execz .LBB12_297
; %bb.296:                              ;   in Loop: Header=BB12_77 Depth=1
	ds_load_b32 v10, v0 offset:720
	s_wait_dscnt 0x0
	v_and_b32_e32 v10, 15, v10
	s_delay_alu instid0(VALU_DEP_1)
	v_cmp_eq_u32_e32 vcc_lo, 0, v10
	s_or_not1_b32 s16, vcc_lo, exec_lo
.LBB12_297:                             ;   in Loop: Header=BB12_77 Depth=1
	s_or_b32 exec_lo, exec_lo, s17
	s_and_saveexec_b32 s17, s11
	s_cbranch_execz .LBB12_299
; %bb.298:                              ;   in Loop: Header=BB12_77 Depth=1
	ds_load_b32 v10, v0 offset:784
	s_wait_dscnt 0x0
	v_and_b32_e32 v10, 15, v10
	s_delay_alu instid0(VALU_DEP_1) | instskip(SKIP_3) | instid1(SALU_CYCLE_1)
	v_cmp_eq_u32_e32 vcc_lo, 0, v10
	s_and_b32 s18, s16, vcc_lo
	s_and_not1_b32 s16, s16, exec_lo
	s_and_b32 s18, s18, exec_lo
	s_or_b32 s16, s16, s18
.LBB12_299:                             ;   in Loop: Header=BB12_77 Depth=1
	s_or_b32 exec_lo, exec_lo, s17
	s_xor_b32 s16, s16, -1
	v_dual_mov_b32 v87, 0 :: v_dual_mov_b32 v102, v34
	v_cndmask_b32_e64 v10, 0, 1, s16
	v_mov_b32_e32 v103, v0
	s_mov_b32 s16, -1
	s_delay_alu instid0(VALU_DEP_2)
	v_cmp_ne_u32_e32 vcc_lo, 0, v10
	v_mov_b32_e32 v10, v41
	s_cbranch_vccnz .LBB12_315
; %bb.300:                              ;   in Loop: Header=BB12_77 Depth=1
	v_ashrrev_i32_e32 v10, 31, v34
	s_mov_b32 s16, exec_lo
	s_delay_alu instid0(VALU_DEP_1) | instskip(NEXT) | instid1(VALU_DEP_1)
	v_lshrrev_b32_e32 v10, 21, v10
	v_add_nc_u32_e32 v10, v34, v10
	s_delay_alu instid0(VALU_DEP_1) | instskip(NEXT) | instid1(VALU_DEP_1)
	v_ashrrev_i32_e32 v87, 11, v10
	v_sub_nc_u32_e32 v112, v87, v41
	s_delay_alu instid0(VALU_DEP_1)
	v_cmpx_lt_i32_e32 0, v112
	s_cbranch_execz .LBB12_304
; %bb.301:                              ;   in Loop: Header=BB12_77 Depth=1
	v_add_nc_u64_e32 v[10:11], v[96:97], v[70:71]
	v_add_nc_u64_e32 v[12:13], v[98:99], v[70:71]
	;; [unrolled: 1-line block ×3, first 2 shown]
	s_mov_b32 s17, 0
.LBB12_302:                             ;   Parent Loop BB12_77 Depth=1
                                        ; =>  This Inner Loop Header: Depth=2
	s_clause 0x3
	global_load_b128 v[44:47], v[10:11], off th:TH_LOAD_NT
	global_load_b128 v[56:59], v[10:11], off offset:512 th:TH_LOAD_NT
	global_load_b128 v[60:63], v[10:11], off offset:1024 th:TH_LOAD_NT
	global_load_b128 v[72:75], v[10:11], off offset:1536 th:TH_LOAD_NT
	v_sub_nc_u32_e32 v112, v112, v36
	s_wait_xcnt 0x0
	v_add_nc_u64_e32 v[10:11], v[10:11], v[50:51]
	s_wait_loadcnt 0x3
	global_store_b128 v[12:13], v[44:47], off th:TH_STORE_NT
	s_wait_loadcnt 0x2
	global_store_b128 v[12:13], v[56:59], off offset:512 th:TH_STORE_NT
	s_wait_loadcnt 0x1
	global_store_b128 v[12:13], v[60:63], off offset:1024 th:TH_STORE_NT
	s_wait_loadcnt 0x0
	global_store_b128 v[12:13], v[72:75], off offset:1536 th:TH_STORE_NT
	s_clause 0x3
	global_store_b128 v[102:103], v[44:47], off th:TH_STORE_NT
	global_store_b128 v[102:103], v[56:59], off offset:512 th:TH_STORE_NT
	global_store_b128 v[102:103], v[60:63], off offset:1024 th:TH_STORE_NT
	;; [unrolled: 1-line block ×3, first 2 shown]
	v_cmp_gt_i32_e32 vcc_lo, 1, v112
	s_wait_xcnt 0x4
	v_add_nc_u64_e32 v[12:13], v[12:13], v[50:51]
	s_wait_xcnt 0x0
	v_add_nc_u64_e32 v[102:103], v[102:103], v[50:51]
	s_or_b32 s17, vcc_lo, s17
	s_delay_alu instid0(SALU_CYCLE_1)
	s_and_not1_b32 exec_lo, exec_lo, s17
	s_cbranch_execnz .LBB12_302
; %bb.303:                              ;   in Loop: Header=BB12_77 Depth=1
	s_or_b32 exec_lo, exec_lo, s17
.LBB12_304:                             ;   in Loop: Header=BB12_77 Depth=1
	s_delay_alu instid0(SALU_CYCLE_1) | instskip(SKIP_3) | instid1(VALU_DEP_1)
	s_or_b32 exec_lo, exec_lo, s16
	v_dual_mov_b32 v87, 0 :: v_dual_lshlrev_b32 v44, 11, v87
	s_mov_b32 s16, 0
	s_mov_b32 s19, exec_lo
                                        ; implicit-def: $vgpr102
                                        ; implicit-def: $vgpr103
                                        ; implicit-def: $vgpr10
	v_cmpx_ne_u32_e64 v34, v44
	s_cbranch_execz .LBB12_314
; %bb.305:                              ;   in Loop: Header=BB12_77 Depth=1
	v_lshlrev_b32_e32 v10, 5, v112
	v_sub_nc_u32_e32 v12, v34, v44
	s_mov_b32 s44, exec_lo
	s_delay_alu instid0(VALU_DEP_1) | instskip(NEXT) | instid1(VALU_DEP_1)
	v_dual_sub_nc_u32 v10, v42, v10 :: v_dual_ashrrev_i32 v13, 31, v12
	v_dual_ashrrev_i32 v11, 31, v10 :: v_dual_lshrrev_b32 v13, 23, v13
	s_delay_alu instid0(VALU_DEP_1) | instskip(NEXT) | instid1(VALU_DEP_1)
	v_lshrrev_b32_e32 v11, 27, v11
	v_add_nc_u32_e32 v11, v10, v11
	s_delay_alu instid0(VALU_DEP_1) | instskip(NEXT) | instid1(VALU_DEP_4)
	v_and_b32_e32 v87, 0xffffffe0, v11
	v_dual_ashrrev_i32 v11, 5, v11 :: v_dual_add_nc_u32 v13, v12, v13
	s_delay_alu instid0(VALU_DEP_1) | instskip(NEXT) | instid1(VALU_DEP_3)
	v_and_b32_e32 v45, 0xfffffe00, v13
	v_dual_sub_nc_u32 v46, v10, v87 :: v_dual_ashrrev_i32 v13, 9, v13
	s_delay_alu instid0(VALU_DEP_1) | instskip(NEXT) | instid1(VALU_DEP_1)
	v_dual_sub_nc_u32 v47, v12, v45 :: v_dual_lshlrev_b32 v10, 4, v46
	v_cmp_lt_i32_e64 s16, 15, v47
	s_delay_alu instid0(VALU_DEP_2) | instskip(NEXT) | instid1(VALU_DEP_2)
	v_lshl_add_u32 v10, v11, 9, v10
	v_add_co_ci_u32_e64 v13, null, 0, v13, s16
	s_delay_alu instid0(VALU_DEP_1) | instskip(NEXT) | instid1(VALU_DEP_1)
	v_dual_sub_nc_u32 v87, v12, v10 :: v_dual_sub_nc_u32 v56, v13, v11
	v_cmpx_lt_i32_e32 15, v87
	s_cbranch_execz .LBB12_311
; %bb.306:                              ;   in Loop: Header=BB12_77 Depth=1
	v_add_nc_u32_e32 v10, v10, v44
	s_mov_b32 s45, 0
	s_delay_alu instid0(VALU_DEP_1) | instskip(NEXT) | instid1(VALU_DEP_1)
	v_ashrrev_i32_e32 v11, 31, v10
	v_add_nc_u64_e32 v[102:103], v[10:11], v[96:97]
	v_add_nc_u64_e32 v[112:113], v[10:11], v[98:99]
	;; [unrolled: 1-line block ×3, first 2 shown]
.LBB12_307:                             ;   Parent Loop BB12_77 Depth=1
                                        ; =>  This Loop Header: Depth=2
                                        ;       Child Loop BB12_308 Depth 3
	global_load_b128 v[10:13], v[102:103], off th:TH_LOAD_NT
	s_mov_b64 s[20:21], 0
	s_mov_b32 s46, -1
.LBB12_308:                             ;   Parent Loop BB12_77 Depth=1
                                        ;     Parent Loop BB12_307 Depth=2
                                        ; =>    This Inner Loop Header: Depth=3
	s_cmp_eq_u32 s20, 1
	s_cselect_b32 vcc_lo, -1, 0
	s_cmp_eq_u32 s20, 0
	s_wait_xcnt 0x0
	v_dual_cndmask_b32 v59, v113, v115 :: v_dual_cndmask_b32 v58, v112, v114
	s_cselect_b32 s17, -1, 0
	s_and_b32 s18, exec_lo, s46
	s_mov_b64 s[20:21], 1
	s_mov_b32 s46, 0
	v_add_nc_u64_e32 v[60:61], 0x200, v[58:59]
	s_wait_loadcnt 0x0
	global_store_b128 v[58:59], v[10:13], off th:TH_STORE_NT
	v_dual_cndmask_b32 v115, v115, v61 :: v_dual_cndmask_b32 v114, v114, v60
	v_dual_cndmask_b32 v113, v113, v61, s17 :: v_dual_cndmask_b32 v112, v112, v60, s17
	s_mov_b32 vcc_lo, s18
	s_cbranch_vccnz .LBB12_308
; %bb.309:                              ;   in Loop: Header=BB12_307 Depth=2
	v_sub_nc_u32_e32 v87, v87, v40
	s_delay_alu instid0(VALU_DEP_2)
	v_add_nc_u64_e32 v[112:113], v[112:113], v[68:69]
	v_add_nc_u64_e32 v[114:115], v[114:115], v[68:69]
	s_wait_xcnt 0x1
	v_add_nc_u64_e32 v[102:103], v[82:83], v[102:103]
	v_sub_nc_u32_e32 v56, v56, v36
	v_cmp_gt_i32_e32 vcc_lo, 16, v87
	s_or_b32 s45, vcc_lo, s45
	s_wait_xcnt 0x0
	s_and_not1_b32 exec_lo, exec_lo, s45
	s_cbranch_execnz .LBB12_307
; %bb.310:                              ;   in Loop: Header=BB12_77 Depth=1
	s_or_b32 exec_lo, exec_lo, s45
.LBB12_311:                             ;   in Loop: Header=BB12_77 Depth=1
	s_delay_alu instid0(SALU_CYCLE_1) | instskip(SKIP_3) | instid1(VALU_DEP_1)
	s_or_b32 exec_lo, exec_lo, s44
	v_dual_mov_b32 v87, 0 :: v_dual_bitop2_b32 v11, 15, v34 bitop3:0x40
	s_mov_b32 s17, 0
	s_mov_b32 s18, exec_lo
                                        ; implicit-def: $vgpr103
                                        ; implicit-def: $vgpr10
	v_cndmask_b32_e64 v102, v47, v11, s16
	s_delay_alu instid0(VALU_DEP_1)
	v_cmpx_ne_u32_e32 0, v102
	s_cbranch_execz .LBB12_313
; %bb.312:                              ;   in Loop: Header=BB12_77 Depth=1
	v_cmp_lt_i32_e32 vcc_lo, 0, v56
	s_mov_b32 s17, exec_lo
	v_dual_cndmask_b32 v10, 0, v36 :: v_dual_sub_nc_u32 v11, v47, v11
	s_delay_alu instid0(VALU_DEP_1) | instskip(NEXT) | instid1(VALU_DEP_1)
	v_dual_cndmask_b32 v11, 0, v11, s16 :: v_dual_sub_nc_u32 v10, v10, v56
	v_add3_u32 v87, v45, v44, v11
	s_delay_alu instid0(VALU_DEP_2) | instskip(NEXT) | instid1(VALU_DEP_1)
	v_lshl_add_u32 v103, v10, 5, v46
	v_ashrrev_i32_e32 v10, 31, v103
	s_delay_alu instid0(VALU_DEP_1) | instskip(NEXT) | instid1(VALU_DEP_1)
	v_lshrrev_b32_e32 v10, 27, v10
	v_add_nc_u32_e32 v10, v103, v10
	s_delay_alu instid0(VALU_DEP_1)
	v_ashrrev_i32_e32 v10, 5, v10
.LBB12_313:                             ;   in Loop: Header=BB12_77 Depth=1
	s_or_b32 exec_lo, exec_lo, s18
	s_delay_alu instid0(SALU_CYCLE_1)
	s_and_b32 s16, s17, exec_lo
.LBB12_314:                             ;   in Loop: Header=BB12_77 Depth=1
	s_or_b32 exec_lo, exec_lo, s19
.LBB12_315:                             ;   in Loop: Header=BB12_77 Depth=1
	s_and_saveexec_b32 s20, s16
	s_cbranch_execz .LBB12_326
; %bb.316:                              ;   in Loop: Header=BB12_77 Depth=1
	v_dual_ashrrev_i32 v11, 31, v102 :: v_dual_ashrrev_i32 v113, 31, v103
	s_mov_b32 s16, exec_lo
	s_delay_alu instid0(VALU_DEP_1) | instskip(NEXT) | instid1(VALU_DEP_1)
	v_lshrrev_b32_e32 v11, 22, v11
	v_add_nc_u32_e32 v11, v102, v11
	s_delay_alu instid0(VALU_DEP_1) | instskip(NEXT) | instid1(VALU_DEP_1)
	v_ashrrev_i32_e32 v114, 10, v11
	v_sub_nc_u32_e32 v112, v114, v10
	s_delay_alu instid0(VALU_DEP_1)
	v_cmpx_lt_i32_e32 0, v112
	s_cbranch_execz .LBB12_320
; %bb.317:                              ;   in Loop: Header=BB12_77 Depth=1
	v_dual_lshrrev_b32 v11, 27, v113 :: v_dual_lshlrev_b32 v10, 10, v10
	v_add_nc_u64_e32 v[46:47], 0x3e0, v[96:97]
	s_mov_b32 s17, 0
	s_delay_alu instid0(VALU_DEP_2) | instskip(NEXT) | instid1(VALU_DEP_1)
	v_add_nc_u32_e32 v11, v103, v11
	v_and_b32_e32 v11, 0xffffffe0, v11
	s_delay_alu instid0(VALU_DEP_1) | instskip(NEXT) | instid1(VALU_DEP_1)
	v_sub_nc_u32_e32 v11, v103, v11
	v_add3_u32 v44, v87, v11, v10
	s_delay_alu instid0(VALU_DEP_1) | instskip(NEXT) | instid1(VALU_DEP_1)
	v_ashrrev_i32_e32 v45, 31, v44
	v_add_nc_u64_e32 v[10:11], v[44:45], v[98:99]
	v_add_nc_u64_e32 v[12:13], v[44:45], v[100:101]
	;; [unrolled: 1-line block ×3, first 2 shown]
.LBB12_318:                             ;   Parent Loop BB12_77 Depth=1
                                        ; =>  This Inner Loop Header: Depth=2
	s_clause 0x1f
	flat_load_u8 v115, v[100:101] offset:-992 th:TH_LOAD_NT
	flat_load_u8 v44, v[100:101] offset:-960 th:TH_LOAD_NT
	;; [unrolled: 1-line block ×31, first 2 shown]
	flat_load_u8 v106, v[100:101] th:TH_LOAD_NT
	v_sub_nc_u32_e32 v112, v112, v36
	s_wait_xcnt 0x0
	v_add_nc_u64_e32 v[100:101], v[100:101], v[54:55]
	s_wait_loadcnt_dscnt 0x1f1f
	flat_store_b8 v[10:11], v115 th:TH_STORE_NT
	s_wait_loadcnt_dscnt 0x1e1f
	flat_store_b8 v[10:11], v44 offset:32 th:TH_STORE_NT
	s_wait_loadcnt_dscnt 0x1d1f
	flat_store_b8 v[10:11], v45 offset:64 th:TH_STORE_NT
	;; [unrolled: 2-line block ×31, first 2 shown]
	s_clause 0x1f
	flat_store_b8 v[12:13], v115 th:TH_STORE_NT
	flat_store_b8 v[12:13], v44 offset:32 th:TH_STORE_NT
	flat_store_b8 v[12:13], v45 offset:64 th:TH_STORE_NT
	;; [unrolled: 1-line block ×31, first 2 shown]
	v_cmp_gt_i32_e32 vcc_lo, 1, v112
	s_wait_xcnt 0x20
	v_add_nc_u64_e32 v[10:11], v[10:11], v[54:55]
	s_wait_xcnt 0x0
	v_add_nc_u64_e32 v[12:13], v[12:13], v[54:55]
	s_or_b32 s17, vcc_lo, s17
	s_delay_alu instid0(SALU_CYCLE_1)
	s_and_not1_b32 exec_lo, exec_lo, s17
	s_cbranch_execnz .LBB12_318
; %bb.319:                              ;   in Loop: Header=BB12_77 Depth=1
	s_or_b32 exec_lo, exec_lo, s17
.LBB12_320:                             ;   in Loop: Header=BB12_77 Depth=1
	s_delay_alu instid0(SALU_CYCLE_1) | instskip(SKIP_1) | instid1(VALU_DEP_1)
	s_or_b32 exec_lo, exec_lo, s16
	v_lshlrev_b32_e32 v10, 10, v114
	v_cmp_ne_u32_e32 vcc_lo, v102, v10
	s_and_b32 exec_lo, exec_lo, vcc_lo
	s_cbranch_execz .LBB12_326
; %bb.321:                              ;   in Loop: Header=BB12_77 Depth=1
	v_dual_lshrrev_b32 v11, 27, v113 :: v_dual_lshlrev_b32 v12, 5, v112
	s_delay_alu instid0(VALU_DEP_1) | instskip(NEXT) | instid1(VALU_DEP_1)
	v_add_nc_u32_e32 v11, v103, v11
	v_and_b32_e32 v11, 0xffffffe0, v11
	s_delay_alu instid0(VALU_DEP_1) | instskip(NEXT) | instid1(VALU_DEP_1)
	v_sub_nc_u32_e32 v11, v103, v11
	v_sub_nc_u32_e32 v11, v11, v12
	s_delay_alu instid0(VALU_DEP_1) | instskip(NEXT) | instid1(VALU_DEP_1)
	v_add_nc_u32_e32 v10, v10, v11
	v_sub_nc_u32_e32 v102, v102, v10
	s_delay_alu instid0(VALU_DEP_1)
	v_cmp_lt_i32_e32 vcc_lo, 0, v102
	s_and_b32 exec_lo, exec_lo, vcc_lo
	s_cbranch_execz .LBB12_326
; %bb.322:                              ;   in Loop: Header=BB12_77 Depth=1
	s_trap 2
	ds_load_b64 v[12:13], v0
	ds_load_b128 v[112:115], v0
	v_add_nc_u32_e32 v100, v10, v87
	s_mov_b32 s21, 0
	s_delay_alu instid0(VALU_DEP_1) | instskip(SKIP_1) | instid1(VALU_DEP_1)
	v_ashrrev_i32_e32 v101, 31, v100
	s_wait_dscnt 0x1
	v_add_nc_u64_e32 v[10:11], v[12:13], v[100:101]
	s_wait_dscnt 0x0
	v_add_nc_u64_e32 v[12:13], v[112:113], v[100:101]
	v_add_nc_u64_e32 v[100:101], v[114:115], v[100:101]
.LBB12_323:                             ;   Parent Loop BB12_77 Depth=1
                                        ; =>  This Loop Header: Depth=2
                                        ;       Child Loop BB12_324 Depth 3
	flat_load_u8 v87, v[10:11] th:TH_LOAD_NT
	s_mov_b64 s[18:19], 0
	s_mov_b32 s44, -1
.LBB12_324:                             ;   Parent Loop BB12_77 Depth=1
                                        ;     Parent Loop BB12_323 Depth=2
                                        ; =>    This Inner Loop Header: Depth=3
	s_cmp_eq_u32 s18, 1
	s_cselect_b32 vcc_lo, -1, 0
	s_cmp_eq_u32 s18, 0
	s_wait_xcnt 0x0
	v_dual_cndmask_b32 v113, v13, v101 :: v_dual_cndmask_b32 v112, v12, v100
	s_cselect_b32 s16, -1, 0
	s_and_b32 s17, exec_lo, s44
	s_mov_b64 s[18:19], 1
	s_mov_b32 s44, 0
	v_add_nc_u64_e32 v[114:115], 32, v[112:113]
	s_wait_loadcnt_dscnt 0x0
	flat_store_b8 v[112:113], v87 th:TH_STORE_NT
	v_dual_cndmask_b32 v101, v101, v115 :: v_dual_cndmask_b32 v100, v100, v114
	v_dual_cndmask_b32 v13, v13, v115, s16 :: v_dual_cndmask_b32 v12, v12, v114, s16
	s_mov_b32 vcc_lo, s17
	s_cbranch_vccnz .LBB12_324
; %bb.325:                              ;   in Loop: Header=BB12_323 Depth=2
	v_sub_nc_u32_e32 v102, v102, v1
	s_delay_alu instid0(VALU_DEP_2)
	v_add_nc_u64_e32 v[12:13], v[12:13], v[64:65]
	v_add_nc_u64_e32 v[100:101], v[100:101], v[64:65]
	s_wait_xcnt 0x1
	v_add_nc_u64_e32 v[10:11], v[80:81], v[10:11]
	v_cmp_gt_i32_e32 vcc_lo, 1, v102
	s_or_b32 s21, vcc_lo, s21
	s_wait_xcnt 0x0
	s_and_not1_b32 exec_lo, exec_lo, s21
	s_cbranch_execnz .LBB12_323
.LBB12_326:                             ;   in Loop: Header=BB12_77 Depth=1
	s_or_b32 exec_lo, exec_lo, s20
	s_mov_b32 s16, 0
.LBB12_327:                             ;   in Loop: Header=BB12_77 Depth=1
	s_delay_alu instid0(SALU_CYCLE_1)
	s_and_b32 vcc_lo, exec_lo, s16
	s_cbranch_vccz .LBB12_356
; %bb.328:                              ;   in Loop: Header=BB12_77 Depth=1
	s_mov_b32 s16, -1
	s_and_saveexec_b32 s17, s13
	s_cbranch_execz .LBB12_330
; %bb.329:                              ;   in Loop: Header=BB12_77 Depth=1
	ds_load_b32 v10, v0 offset:720
	s_wait_dscnt 0x0
	v_and_b32_e32 v10, 15, v10
	s_delay_alu instid0(VALU_DEP_1)
	v_cmp_eq_u32_e32 vcc_lo, 0, v10
	s_or_not1_b32 s16, vcc_lo, exec_lo
.LBB12_330:                             ;   in Loop: Header=BB12_77 Depth=1
	s_or_b32 exec_lo, exec_lo, s17
	s_and_saveexec_b32 s17, s13
	s_cbranch_execz .LBB12_332
; %bb.331:                              ;   in Loop: Header=BB12_77 Depth=1
	ds_load_b32 v10, v0 offset:784
	s_wait_dscnt 0x0
	v_and_b32_e32 v10, 15, v10
	s_delay_alu instid0(VALU_DEP_1) | instskip(SKIP_3) | instid1(SALU_CYCLE_1)
	v_cmp_eq_u32_e32 vcc_lo, 0, v10
	s_and_b32 s18, s16, vcc_lo
	s_and_not1_b32 s16, s16, exec_lo
	s_and_b32 s18, s18, exec_lo
	s_or_b32 s16, s16, s18
.LBB12_332:                             ;   in Loop: Header=BB12_77 Depth=1
	s_or_b32 exec_lo, exec_lo, s17
	s_xor_b32 s16, s16, -1
	v_dual_mov_b32 v12, 0 :: v_dual_mov_b32 v13, v34
	v_cndmask_b32_e64 v10, 0, 1, s16
	v_mov_b32_e32 v87, v0
	s_mov_b32 s18, -1
	s_delay_alu instid0(VALU_DEP_2)
	v_cmp_ne_u32_e32 vcc_lo, 0, v10
	v_mov_b32_e32 v10, v41
	s_cbranch_vccnz .LBB12_346
; %bb.333:                              ;   in Loop: Header=BB12_77 Depth=1
	v_ashrrev_i32_e32 v10, 31, v34
	s_mov_b32 s16, exec_lo
	s_delay_alu instid0(VALU_DEP_1) | instskip(NEXT) | instid1(VALU_DEP_1)
	v_lshrrev_b32_e32 v10, 20, v10
	v_add_nc_u32_e32 v10, v34, v10
	s_delay_alu instid0(VALU_DEP_1) | instskip(NEXT) | instid1(VALU_DEP_1)
	v_ashrrev_i32_e32 v87, 12, v10
	v_sub_nc_u32_e32 v101, v87, v41
	s_delay_alu instid0(VALU_DEP_1)
	v_cmpx_lt_i32_e32 0, v101
	s_cbranch_execz .LBB12_337
; %bb.334:                              ;   in Loop: Header=BB12_77 Depth=1
	v_mov_b64_e32 v[10:11], v[98:99]
	v_mov_b64_e32 v[12:13], v[96:97]
	s_mov_b32 s17, 0
.LBB12_335:                             ;   Parent Loop BB12_77 Depth=1
                                        ; =>  This Inner Loop Header: Depth=2
	s_delay_alu instid0(VALU_DEP_1)
	v_add_nc_u64_e32 v[102:103], v[84:85], v[12:13]
	v_sub_nc_u32_e32 v101, v101, v36
	v_add_nc_u64_e32 v[12:13], v[12:13], v[66:67]
	s_clause 0x7
	global_load_b128 v[112:115], v[102:103], off th:TH_LOAD_NT
	global_load_b128 v[44:47], v[102:103], off offset:512 th:TH_LOAD_NT
	global_load_b128 v[56:59], v[102:103], off offset:1024 th:TH_LOAD_NT
	;; [unrolled: 1-line block ×7, first 2 shown]
	s_wait_xcnt 0x0
	v_add_nc_u64_e32 v[102:103], v[84:85], v[10:11]
	v_add_nc_u64_e32 v[10:11], v[10:11], v[66:67]
	v_cmp_gt_i32_e32 vcc_lo, 1, v101
	s_wait_loadcnt 0x7
	global_store_b128 v[102:103], v[112:115], off th:TH_STORE_NT
	s_wait_loadcnt 0x6
	global_store_b128 v[102:103], v[44:47], off offset:512 th:TH_STORE_NT
	s_wait_loadcnt 0x5
	global_store_b128 v[102:103], v[56:59], off offset:1024 th:TH_STORE_NT
	;; [unrolled: 2-line block ×7, first 2 shown]
	s_or_b32 s17, vcc_lo, s17
	s_wait_xcnt 0x0
	s_and_not1_b32 exec_lo, exec_lo, s17
	s_cbranch_execnz .LBB12_335
; %bb.336:                              ;   in Loop: Header=BB12_77 Depth=1
	s_or_b32 exec_lo, exec_lo, s17
.LBB12_337:                             ;   in Loop: Header=BB12_77 Depth=1
	s_delay_alu instid0(SALU_CYCLE_1) | instskip(SKIP_3) | instid1(VALU_DEP_1)
	s_or_b32 exec_lo, exec_lo, s16
	v_dual_lshlrev_b32 v100, 12, v87 :: v_dual_mov_b32 v12, 0
	s_mov_b32 s18, 0
	s_mov_b32 s17, exec_lo
                                        ; implicit-def: $vgpr13
                                        ; implicit-def: $vgpr87
                                        ; implicit-def: $vgpr10
	v_cmpx_ne_u32_e64 v34, v100
	s_cbranch_execz .LBB12_345
; %bb.338:                              ;   in Loop: Header=BB12_77 Depth=1
	v_dual_lshlrev_b32 v10, 5, v101 :: v_dual_sub_nc_u32 v12, v34, v100
	s_mov_b32 s18, exec_lo
	s_delay_alu instid0(VALU_DEP_1) | instskip(NEXT) | instid1(VALU_DEP_1)
	v_dual_sub_nc_u32 v10, v42, v10 :: v_dual_ashrrev_i32 v13, 31, v12
	v_dual_ashrrev_i32 v11, 31, v10 :: v_dual_lshrrev_b32 v13, 23, v13
	s_delay_alu instid0(VALU_DEP_1) | instskip(NEXT) | instid1(VALU_DEP_1)
	v_lshrrev_b32_e32 v11, 27, v11
	v_add_nc_u32_e32 v11, v10, v11
	s_delay_alu instid0(VALU_DEP_1) | instskip(NEXT) | instid1(VALU_DEP_1)
	v_and_b32_e32 v87, 0xffffffe0, v11
	v_dual_add_nc_u32 v13, v12, v13 :: v_dual_sub_nc_u32 v102, v10, v87
	s_delay_alu instid0(VALU_DEP_1) | instskip(SKIP_1) | instid1(VALU_DEP_3)
	v_and_b32_e32 v101, 0xfffffe00, v13
	v_dual_ashrrev_i32 v11, 5, v11 :: v_dual_ashrrev_i32 v13, 9, v13
	v_lshlrev_b32_e32 v10, 4, v102
	s_delay_alu instid0(VALU_DEP_1) | instskip(NEXT) | instid1(VALU_DEP_1)
	v_lshl_add_u32 v10, v11, 9, v10
	v_dual_sub_nc_u32 v103, v12, v101 :: v_dual_sub_nc_u32 v12, v12, v10
	s_delay_alu instid0(VALU_DEP_1) | instskip(SKIP_1) | instid1(VALU_DEP_1)
	v_cmp_lt_i32_e32 vcc_lo, 15, v103
	v_add_co_ci_u32_e64 v13, null, 0, v13, vcc_lo
	v_sub_nc_u32_e32 v112, v13, v11
	s_delay_alu instid0(VALU_DEP_4)
	v_cmpx_lt_i32_e32 15, v12
	s_cbranch_execz .LBB12_342
; %bb.339:                              ;   in Loop: Header=BB12_77 Depth=1
	v_add_nc_u32_e32 v10, v10, v100
	s_mov_b32 s19, 0
	s_delay_alu instid0(VALU_DEP_1)
	v_ashrrev_i32_e32 v11, 31, v10
.LBB12_340:                             ;   Parent Loop BB12_77 Depth=1
                                        ; =>  This Inner Loop Header: Depth=2
	s_delay_alu instid0(VALU_DEP_1) | instskip(SKIP_2) | instid1(VALU_DEP_2)
	v_add_nc_u64_e32 v[114:115], v[96:97], v[10:11]
	v_sub_nc_u32_e32 v12, v12, v40
	v_sub_nc_u32_e32 v112, v112, v36
	v_cmp_gt_i32_e64 s16, 16, v12
	global_load_b128 v[44:47], v[114:115], off th:TH_LOAD_NT
	s_wait_xcnt 0x0
	v_add_nc_u64_e32 v[114:115], v[98:99], v[10:11]
	v_add_nc_u64_e32 v[10:11], v[10:11], v[82:83]
	s_or_b32 s19, s16, s19
	s_wait_loadcnt 0x0
	global_store_b128 v[114:115], v[44:47], off th:TH_STORE_NT
	s_wait_xcnt 0x0
	s_and_not1_b32 exec_lo, exec_lo, s19
	s_cbranch_execnz .LBB12_340
; %bb.341:                              ;   in Loop: Header=BB12_77 Depth=1
	s_or_b32 exec_lo, exec_lo, s19
.LBB12_342:                             ;   in Loop: Header=BB12_77 Depth=1
	s_delay_alu instid0(SALU_CYCLE_1) | instskip(SKIP_3) | instid1(VALU_DEP_1)
	s_or_b32 exec_lo, exec_lo, s18
	v_dual_mov_b32 v12, 0 :: v_dual_bitop2_b32 v11, 15, v34 bitop3:0x40
	s_mov_b32 s18, 0
	s_mov_b32 s19, exec_lo
                                        ; implicit-def: $vgpr87
                                        ; implicit-def: $vgpr10
	v_cndmask_b32_e32 v13, v103, v11, vcc_lo
	s_delay_alu instid0(VALU_DEP_1)
	v_cmpx_ne_u32_e32 0, v13
	s_cbranch_execz .LBB12_344
; %bb.343:                              ;   in Loop: Header=BB12_77 Depth=1
	v_cmp_lt_i32_e64 s16, 0, v112
	s_mov_b32 s18, exec_lo
	v_dual_sub_nc_u32 v11, v103, v11 :: v_dual_cndmask_b32 v10, 0, v36, s16
	s_delay_alu instid0(VALU_DEP_1) | instskip(NEXT) | instid1(VALU_DEP_1)
	v_dual_cndmask_b32 v11, 0, v11 :: v_dual_sub_nc_u32 v10, v10, v112
	v_add3_u32 v12, v101, v100, v11
	s_delay_alu instid0(VALU_DEP_2) | instskip(NEXT) | instid1(VALU_DEP_1)
	v_lshl_add_u32 v87, v10, 5, v102
	v_ashrrev_i32_e32 v10, 31, v87
	s_delay_alu instid0(VALU_DEP_1) | instskip(NEXT) | instid1(VALU_DEP_1)
	v_lshrrev_b32_e32 v10, 27, v10
	v_add_nc_u32_e32 v10, v87, v10
	s_delay_alu instid0(VALU_DEP_1)
	v_ashrrev_i32_e32 v10, 5, v10
.LBB12_344:                             ;   in Loop: Header=BB12_77 Depth=1
	s_or_b32 exec_lo, exec_lo, s19
	s_delay_alu instid0(SALU_CYCLE_1)
	s_and_b32 s18, s18, exec_lo
.LBB12_345:                             ;   in Loop: Header=BB12_77 Depth=1
	s_or_b32 exec_lo, exec_lo, s17
.LBB12_346:                             ;   in Loop: Header=BB12_77 Depth=1
	s_and_saveexec_b32 s16, s18
	s_cbranch_execz .LBB12_355
; %bb.347:                              ;   in Loop: Header=BB12_77 Depth=1
	v_ashrrev_i32_e32 v11, 31, v13
	s_mov_b32 s17, exec_lo
	s_delay_alu instid0(VALU_DEP_1) | instskip(NEXT) | instid1(VALU_DEP_1)
	v_lshrrev_b32_e32 v11, 22, v11
	v_add_nc_u32_e32 v11, v13, v11
	s_delay_alu instid0(VALU_DEP_1) | instskip(NEXT) | instid1(VALU_DEP_1)
	v_ashrrev_i32_e32 v101, 10, v11
	v_sub_nc_u32_e32 v100, v101, v10
	s_delay_alu instid0(VALU_DEP_1)
	v_cmpx_lt_i32_e32 0, v100
	s_cbranch_execz .LBB12_351
; %bb.348:                              ;   in Loop: Header=BB12_77 Depth=1
	v_dual_ashrrev_i32 v11, 31, v87 :: v_dual_lshlrev_b32 v10, 10, v10
	s_mov_b32 s18, 0
	s_delay_alu instid0(VALU_DEP_1) | instskip(NEXT) | instid1(VALU_DEP_1)
	v_lshrrev_b32_e32 v11, 27, v11
	v_add_nc_u32_e32 v11, v87, v11
	s_delay_alu instid0(VALU_DEP_1) | instskip(NEXT) | instid1(VALU_DEP_1)
	v_and_b32_e32 v11, 0xffffffe0, v11
	v_sub_nc_u32_e32 v11, v87, v11
	s_delay_alu instid0(VALU_DEP_1) | instskip(NEXT) | instid1(VALU_DEP_1)
	v_add3_u32 v10, v12, v11, v10
	v_ashrrev_i32_e32 v11, 31, v10
.LBB12_349:                             ;   Parent Loop BB12_77 Depth=1
                                        ; =>  This Inner Loop Header: Depth=2
	s_delay_alu instid0(VALU_DEP_1)
	v_add_nc_u64_e32 v[102:103], v[10:11], v[96:97]
	v_sub_nc_u32_e32 v100, v100, v36
	v_add_nc_u64_e32 v[96:97], v[96:97], v[54:55]
	s_clause 0x1f
	flat_load_u8 v112, v[102:103] th:TH_LOAD_NT
	flat_load_u8 v113, v[102:103] offset:32 th:TH_LOAD_NT
	flat_load_u8 v114, v[102:103] offset:64 th:TH_LOAD_NT
	;; [unrolled: 1-line block ×31, first 2 shown]
	s_wait_xcnt 0x0
	v_add_nc_u64_e32 v[102:103], v[10:11], v[98:99]
	v_add_nc_u64_e32 v[98:99], v[98:99], v[54:55]
	v_cmp_gt_i32_e32 vcc_lo, 1, v100
	s_wait_loadcnt_dscnt 0x1f1f
	flat_store_b8 v[102:103], v112 th:TH_STORE_NT
	s_wait_loadcnt_dscnt 0x1e1f
	flat_store_b8 v[102:103], v113 offset:32 th:TH_STORE_NT
	s_wait_loadcnt_dscnt 0x1d1f
	flat_store_b8 v[102:103], v114 offset:64 th:TH_STORE_NT
	;; [unrolled: 2-line block ×31, first 2 shown]
	s_or_b32 s18, vcc_lo, s18
	s_wait_xcnt 0x0
	s_and_not1_b32 exec_lo, exec_lo, s18
	s_cbranch_execnz .LBB12_349
; %bb.350:                              ;   in Loop: Header=BB12_77 Depth=1
	s_or_b32 exec_lo, exec_lo, s18
.LBB12_351:                             ;   in Loop: Header=BB12_77 Depth=1
	s_delay_alu instid0(SALU_CYCLE_1) | instskip(SKIP_1) | instid1(VALU_DEP_1)
	s_or_b32 exec_lo, exec_lo, s17
	v_lshlrev_b32_e32 v10, 10, v101
	v_cmp_ne_u32_e32 vcc_lo, v13, v10
	s_and_b32 exec_lo, exec_lo, vcc_lo
	s_cbranch_execz .LBB12_355
; %bb.352:                              ;   in Loop: Header=BB12_77 Depth=1
	v_ashrrev_i32_e32 v11, 31, v87
	s_delay_alu instid0(VALU_DEP_1) | instskip(NEXT) | instid1(VALU_DEP_1)
	v_lshrrev_b32_e32 v11, 27, v11
	v_add_nc_u32_e32 v11, v87, v11
	s_delay_alu instid0(VALU_DEP_1) | instskip(NEXT) | instid1(VALU_DEP_1)
	v_and_b32_e32 v11, 0xffffffe0, v11
	v_dual_sub_nc_u32 v11, v87, v11 :: v_dual_lshlrev_b32 v87, 5, v100
	s_delay_alu instid0(VALU_DEP_1) | instskip(NEXT) | instid1(VALU_DEP_1)
	v_sub_nc_u32_e32 v11, v11, v87
	v_add_nc_u32_e32 v96, v10, v11
	s_delay_alu instid0(VALU_DEP_1) | instskip(NEXT) | instid1(VALU_DEP_1)
	v_sub_nc_u32_e32 v87, v13, v96
	v_cmp_lt_i32_e32 vcc_lo, 0, v87
	s_and_b32 exec_lo, exec_lo, vcc_lo
	s_cbranch_execz .LBB12_355
; %bb.353:                              ;   in Loop: Header=BB12_77 Depth=1
	s_trap 2
	ds_load_b64 v[10:11], v0
	v_add_nc_u32_e32 v12, v96, v12
	s_mov_b32 s17, 0
	s_delay_alu instid0(VALU_DEP_1)
	v_ashrrev_i32_e32 v13, 31, v12
.LBB12_354:                             ;   Parent Loop BB12_77 Depth=1
                                        ; =>  This Inner Loop Header: Depth=2
	s_wait_dscnt 0x0
	s_delay_alu instid0(VALU_DEP_1) | instskip(SKIP_2) | instid1(VALU_DEP_2)
	v_add_nc_u64_e32 v[96:97], v[10:11], v[12:13]
	v_sub_nc_u32_e32 v87, v87, v1
	v_add_nc_u64_e32 v[12:13], v[12:13], v[80:81]
	v_cmp_gt_i32_e32 vcc_lo, 1, v87
	flat_load_u8 v98, v[96:97] th:TH_LOAD_NT
	s_or_b32 s17, vcc_lo, s17
	s_wait_loadcnt_dscnt 0x0
	flat_store_b8 v[96:97], v98 th:TH_STORE_NT
	s_wait_xcnt 0x0
	s_and_not1_b32 exec_lo, exec_lo, s17
	s_cbranch_execnz .LBB12_354
.LBB12_355:                             ;   in Loop: Header=BB12_77 Depth=1
	s_or_b32 exec_lo, exec_lo, s16
.LBB12_356:                             ;   in Loop: Header=BB12_77 Depth=1
	v_cmp_lt_i32_e64 s16, 0, v34
	s_and_saveexec_b32 s17, s3
	s_cbranch_execnz .LBB12_362
.LBB12_357:                             ;   in Loop: Header=BB12_77 Depth=1
	s_or_b32 exec_lo, exec_lo, s17
                                        ; implicit-def: $vgpr10
	s_and_saveexec_b32 s17, s12
	s_delay_alu instid0(SALU_CYCLE_1)
	s_xor_b32 s17, exec_lo, s17
	s_cbranch_execz .LBB12_399
.LBB12_358:                             ;   in Loop: Header=BB12_77 Depth=1
	v_and_b32_e32 v10, 16, v116
	s_delay_alu instid0(VALU_DEP_1) | instskip(SKIP_2) | instid1(SALU_CYCLE_1)
	v_cmp_ne_u32_e32 vcc_lo, 0, v10
	v_and_b32_e32 v10, 16, v116
	s_and_b32 s18, vcc_lo, s16
	s_and_saveexec_b32 s16, s18
	s_cbranch_execz .LBB12_360
; %bb.359:                              ;   in Loop: Header=BB12_77 Depth=1
	v_mov_b32_e32 v10, 1
	global_wb scope:SCOPE_SYS
	s_wait_storecnt 0x0
	s_wait_loadcnt_dscnt 0x0
	global_inv scope:SCOPE_SYS
.LBB12_360:                             ;   in Loop: Header=BB12_77 Depth=1
	s_or_b32 exec_lo, exec_lo, s16
	s_and_not1_saveexec_b32 s16, s17
	s_cbranch_execz .LBB12_473
	s_branch .LBB12_400
.LBB12_361:                             ;   in Loop: Header=BB12_77 Depth=1
	s_mov_b32 s16, 0
	s_and_saveexec_b32 s17, s3
	s_cbranch_execz .LBB12_357
.LBB12_362:                             ;   in Loop: Header=BB12_77 Depth=1
	s_and_saveexec_b32 s18, s4
	s_delay_alu instid0(SALU_CYCLE_1)
	s_xor_b32 s18, exec_lo, s18
	s_cbranch_execz .LBB12_396
; %bb.363:                              ;   in Loop: Header=BB12_77 Depth=1
	s_and_saveexec_b32 s19, s7
	s_cbranch_execz .LBB12_395
; %bb.364:                              ;   in Loop: Header=BB12_77 Depth=1
	s_mov_b32 s21, exec_lo
	s_mov_b32 s20, exec_lo
	v_mbcnt_lo_u32_b32 v10, s21, 0
	global_wb scope:SCOPE_DEV
	s_wait_storecnt 0x0
	s_wait_loadcnt_dscnt 0x0
	global_inv scope:SCOPE_DEV
	v_cmpx_eq_u32_e32 0, v10
	s_cbranch_execz .LBB12_366
; %bb.365:                              ;   in Loop: Header=BB12_77 Depth=1
	s_bcnt1_i32_b32 s21, s21
	s_delay_alu instid0(SALU_CYCLE_1)
	v_mov_b32_e32 v34, s21
	s_wait_loadcnt 0x0
	ds_add_u64 v0, v[34:35]
	s_trap 2
.LBB12_366:                             ;   in Loop: Header=BB12_77 Depth=1
	s_or_b32 exec_lo, exec_lo, s20
	s_trap 2
	ds_load_b64 v[10:11], v0
	s_wait_dscnt 0x0
	v_add_nc_u64_e32 v[26:27], v[26:27], v[36:37]
	s_mov_b32 s20, exec_lo
	s_delay_alu instid0(VALU_DEP_1)
	v_cmpx_lt_u64_e64 v[10:11], v[26:27]
	s_cbranch_execz .LBB12_394
; %bb.367:                              ;   in Loop: Header=BB12_77 Depth=1
	s_mov_b32 s21, 0
	s_mov_b32 s46, 0
                                        ; implicit-def: $sgpr44
                                        ; implicit-def: $sgpr45
	s_branch .LBB12_369
.LBB12_368:                             ;   in Loop: Header=BB12_369 Depth=2
	s_or_b32 exec_lo, exec_lo, s56
	s_delay_alu instid0(SALU_CYCLE_1) | instskip(NEXT) | instid1(SALU_CYCLE_1)
	s_and_b32 s47, exec_lo, s57
	s_or_b32 s21, s47, s21
	s_and_not1_b32 s44, s44, exec_lo
	s_and_b32 s47, s45, exec_lo
	s_delay_alu instid0(SALU_CYCLE_1)
	s_or_b32 s44, s44, s47
	s_and_not1_b32 exec_lo, exec_lo, s21
	s_cbranch_execz .LBB12_392
.LBB12_369:                             ;   Parent Loop BB12_77 Depth=1
                                        ; =>  This Inner Loop Header: Depth=2
	s_add_co_i32 s46, s46, 1
	s_delay_alu instid0(SALU_CYCLE_1) | instskip(SKIP_1) | instid1(SALU_CYCLE_1)
	s_cmp_lg_u32 s46, 0x2710
	s_cselect_b32 s47, -1, 0
	s_and_b32 vcc_lo, exec_lo, s47
	s_cbranch_vccz .LBB12_371
; %bb.370:                              ;   in Loop: Header=BB12_369 Depth=2
	s_mov_b32 s57, -1
	s_or_b32 s45, s45, exec_lo
	s_and_saveexec_b32 s56, s47
	s_cbranch_execz .LBB12_368
	s_branch .LBB12_372
.LBB12_371:                             ;   in Loop: Header=BB12_369 Depth=2
	s_trap 2
	ds_load_b64 v[10:11], v0
	s_and_not1_b32 s47, s47, exec_lo
	s_mov_b32 s46, 0
	s_wait_loadcnt_dscnt 0x0
	flat_load_b32 v10, v[10:11] scope:SCOPE_SYS
	s_wait_loadcnt_dscnt 0x0
	global_inv scope:SCOPE_SYS
	v_cmp_eq_u32_e32 vcc_lo, 0, v10
	s_and_b32 s56, vcc_lo, exec_lo
	s_delay_alu instid0(SALU_CYCLE_1)
	s_or_b32 s47, s47, s56
	s_mov_b32 s57, -1
	s_or_b32 s45, s45, exec_lo
	s_and_saveexec_b32 s56, s47
	s_cbranch_execz .LBB12_368
.LBB12_372:                             ;   in Loop: Header=BB12_369 Depth=2
	s_sleep 1
	s_trap 2
	ds_load_b64 v[10:11], v0
	s_wait_dscnt 0x0
	s_and_not1_b32 s45, s45, exec_lo
	v_cmp_ge_u64_e32 vcc_lo, v[10:11], v[26:27]
	s_or_not1_b32 s57, vcc_lo, exec_lo
	s_branch .LBB12_368
.LBB12_373:                             ;   in Loop: Header=BB12_77 Depth=1
	s_or_b32 exec_lo, exec_lo, s21
	s_and_saveexec_b32 s21, s43
	s_delay_alu instid0(SALU_CYCLE_1)
	s_xor_b32 s21, exec_lo, s21
	s_cbranch_execz .LBB12_375
; %bb.374:                              ;   in Loop: Header=BB12_77 Depth=1
	ds_store_b32 v0, v118
	s_trap 2
.LBB12_375:                             ;   in Loop: Header=BB12_77 Depth=1
	s_or_b32 exec_lo, exec_lo, s20
	;;#ASMSTART
	s_wakeup
	;;#ASMEND
.LBB12_376:                             ;   in Loop: Header=BB12_77 Depth=1
	s_or_b32 exec_lo, exec_lo, s19
.LBB12_377:                             ;   in Loop: Header=BB12_77 Depth=1
	s_and_not1_saveexec_b32 s18, s18
	s_cbranch_execz .LBB12_379
; %bb.378:                              ;   in Loop: Header=BB12_77 Depth=1
	global_wb scope:SCOPE_DEV
	s_wait_storecnt 0x0
	s_wait_loadcnt_dscnt 0x0
	global_inv scope:SCOPE_DEV
	s_barrier_signal -1
	s_barrier_wait -1
.LBB12_379:                             ;   in Loop: Header=BB12_77 Depth=1
	s_or_b32 exec_lo, exec_lo, s18
	s_delay_alu instid0(SALU_CYCLE_1) | instskip(SKIP_1) | instid1(SALU_CYCLE_1)
	s_or_b32 exec_lo, exec_lo, s17
                                        ; implicit-def: $vgpr10
	s_and_saveexec_b32 s17, s12
	s_xor_b32 s17, exec_lo, s17
	s_cbranch_execnz .LBB12_270
.LBB12_380:                             ;   in Loop: Header=BB12_77 Depth=1
	s_and_not1_saveexec_b32 s16, s17
	s_cbranch_execz .LBB12_418
.LBB12_381:                             ;   in Loop: Header=BB12_77 Depth=1
	s_and_saveexec_b32 s17, s4
	s_delay_alu instid0(SALU_CYCLE_1)
	s_xor_b32 s17, exec_lo, s17
	s_cbranch_execz .LBB12_415
; %bb.382:                              ;   in Loop: Header=BB12_77 Depth=1
	s_and_saveexec_b32 s18, s7
	s_cbranch_execz .LBB12_414
; %bb.383:                              ;   in Loop: Header=BB12_77 Depth=1
	s_mov_b32 s20, exec_lo
	s_mov_b32 s19, exec_lo
	v_mbcnt_lo_u32_b32 v10, s20, 0
	;;#ASMSTART
	s_waitcnt lgkmcnt(0) vmcnt(0)
	;;#ASMEND
	s_delay_alu instid0(VALU_DEP_1)
	v_cmpx_eq_u32_e32 0, v10
	s_cbranch_execz .LBB12_385
; %bb.384:                              ;   in Loop: Header=BB12_77 Depth=1
	s_bcnt1_i32_b32 s20, s20
	s_delay_alu instid0(SALU_CYCLE_1)
	v_mov_b32_e32 v34, s20
	s_wait_storecnt 0x0
	s_wait_loadcnt_dscnt 0x0
	ds_add_u64 v0, v[34:35]
	s_trap 2
.LBB12_385:                             ;   in Loop: Header=BB12_77 Depth=1
	s_or_b32 exec_lo, exec_lo, s19
	s_trap 2
	ds_load_b64 v[10:11], v0
	s_wait_dscnt 0x0
	v_add_nc_u64_e32 v[26:27], v[26:27], v[36:37]
	s_mov_b32 s19, exec_lo
	s_delay_alu instid0(VALU_DEP_1)
	v_cmpx_lt_u64_e64 v[10:11], v[26:27]
	s_cbranch_execz .LBB12_413
; %bb.386:                              ;   in Loop: Header=BB12_77 Depth=1
	s_mov_b32 s20, 0
	s_mov_b32 s44, 0
                                        ; implicit-def: $sgpr21
                                        ; implicit-def: $sgpr43
	s_branch .LBB12_388
.LBB12_387:                             ;   in Loop: Header=BB12_388 Depth=2
	s_or_b32 exec_lo, exec_lo, s46
	s_delay_alu instid0(SALU_CYCLE_1) | instskip(NEXT) | instid1(SALU_CYCLE_1)
	s_and_b32 s45, exec_lo, s47
	s_or_b32 s20, s45, s20
	s_and_not1_b32 s21, s21, exec_lo
	s_and_b32 s45, s43, exec_lo
	s_delay_alu instid0(SALU_CYCLE_1)
	s_or_b32 s21, s21, s45
	s_and_not1_b32 exec_lo, exec_lo, s20
	s_cbranch_execz .LBB12_411
.LBB12_388:                             ;   Parent Loop BB12_77 Depth=1
                                        ; =>  This Inner Loop Header: Depth=2
	s_add_co_i32 s44, s44, 1
	s_delay_alu instid0(SALU_CYCLE_1) | instskip(SKIP_1) | instid1(SALU_CYCLE_1)
	s_cmp_lg_u32 s44, 0x2710
	s_cselect_b32 s45, -1, 0
	s_and_b32 vcc_lo, exec_lo, s45
	s_cbranch_vccz .LBB12_390
; %bb.389:                              ;   in Loop: Header=BB12_388 Depth=2
	s_mov_b32 s47, -1
	s_or_b32 s43, s43, exec_lo
	s_and_saveexec_b32 s46, s45
	s_cbranch_execz .LBB12_387
	s_branch .LBB12_391
.LBB12_390:                             ;   in Loop: Header=BB12_388 Depth=2
	s_trap 2
	ds_load_b64 v[10:11], v0
	s_and_not1_b32 s45, s45, exec_lo
	s_mov_b32 s44, 0
	s_wait_storecnt 0x0
	s_wait_loadcnt_dscnt 0x0
	flat_load_b32 v10, v[10:11] scope:SCOPE_SYS
	s_wait_loadcnt_dscnt 0x0
	global_inv scope:SCOPE_SYS
	v_cmp_eq_u32_e32 vcc_lo, 0, v10
	s_and_b32 s46, vcc_lo, exec_lo
	s_delay_alu instid0(SALU_CYCLE_1)
	s_or_b32 s45, s45, s46
	s_mov_b32 s47, -1
	s_or_b32 s43, s43, exec_lo
	s_and_saveexec_b32 s46, s45
	s_cbranch_execz .LBB12_387
.LBB12_391:                             ;   in Loop: Header=BB12_388 Depth=2
	s_sleep 1
	s_trap 2
	ds_load_b64 v[10:11], v0
	s_wait_dscnt 0x0
	s_and_not1_b32 s43, s43, exec_lo
	v_cmp_ge_u64_e32 vcc_lo, v[10:11], v[26:27]
	s_or_not1_b32 s47, vcc_lo, exec_lo
	s_branch .LBB12_387
.LBB12_392:                             ;   in Loop: Header=BB12_77 Depth=1
	s_or_b32 exec_lo, exec_lo, s21
	s_and_saveexec_b32 s21, s44
	s_delay_alu instid0(SALU_CYCLE_1)
	s_xor_b32 s21, exec_lo, s21
	s_cbranch_execz .LBB12_394
; %bb.393:                              ;   in Loop: Header=BB12_77 Depth=1
	ds_store_b32 v0, v118
	s_trap 2
.LBB12_394:                             ;   in Loop: Header=BB12_77 Depth=1
	s_or_b32 exec_lo, exec_lo, s20
	;;#ASMSTART
	s_wakeup
	;;#ASMEND
.LBB12_395:                             ;   in Loop: Header=BB12_77 Depth=1
	s_or_b32 exec_lo, exec_lo, s19
.LBB12_396:                             ;   in Loop: Header=BB12_77 Depth=1
	s_and_not1_saveexec_b32 s18, s18
	s_cbranch_execz .LBB12_398
; %bb.397:                              ;   in Loop: Header=BB12_77 Depth=1
	global_wb scope:SCOPE_DEV
	s_wait_storecnt 0x0
	s_wait_loadcnt_dscnt 0x0
	global_inv scope:SCOPE_DEV
	s_barrier_signal -1
	s_barrier_wait -1
.LBB12_398:                             ;   in Loop: Header=BB12_77 Depth=1
	s_or_b32 exec_lo, exec_lo, s18
	s_delay_alu instid0(SALU_CYCLE_1) | instskip(SKIP_1) | instid1(SALU_CYCLE_1)
	s_or_b32 exec_lo, exec_lo, s17
                                        ; implicit-def: $vgpr10
	s_and_saveexec_b32 s17, s12
	s_xor_b32 s17, exec_lo, s17
	s_cbranch_execnz .LBB12_358
.LBB12_399:                             ;   in Loop: Header=BB12_77 Depth=1
	s_and_not1_saveexec_b32 s16, s17
	s_cbranch_execz .LBB12_473
.LBB12_400:                             ;   in Loop: Header=BB12_77 Depth=1
	s_and_saveexec_b32 s17, s4
	s_delay_alu instid0(SALU_CYCLE_1)
	s_xor_b32 s17, exec_lo, s17
	s_cbranch_execz .LBB12_470
; %bb.401:                              ;   in Loop: Header=BB12_77 Depth=1
	s_and_saveexec_b32 s18, s7
	s_cbranch_execz .LBB12_469
; %bb.402:                              ;   in Loop: Header=BB12_77 Depth=1
	s_mov_b32 s20, exec_lo
	s_mov_b32 s19, exec_lo
	v_mbcnt_lo_u32_b32 v10, s20, 0
	;;#ASMSTART
	s_waitcnt lgkmcnt(0) vmcnt(0)
	;;#ASMEND
	s_delay_alu instid0(VALU_DEP_1)
	v_cmpx_eq_u32_e32 0, v10
	s_cbranch_execz .LBB12_404
; %bb.403:                              ;   in Loop: Header=BB12_77 Depth=1
	s_bcnt1_i32_b32 s20, s20
	s_delay_alu instid0(SALU_CYCLE_1)
	v_mov_b32_e32 v34, s20
	s_wait_storecnt 0x0
	s_wait_loadcnt_dscnt 0x0
	ds_add_u64 v0, v[34:35]
	s_trap 2
.LBB12_404:                             ;   in Loop: Header=BB12_77 Depth=1
	s_or_b32 exec_lo, exec_lo, s19
	s_trap 2
	ds_load_b64 v[10:11], v0
	s_wait_dscnt 0x0
	v_add_nc_u64_e32 v[26:27], v[26:27], v[36:37]
	s_mov_b32 s19, exec_lo
	s_delay_alu instid0(VALU_DEP_1)
	v_cmpx_lt_u64_e64 v[10:11], v[26:27]
	s_cbranch_execz .LBB12_468
; %bb.405:                              ;   in Loop: Header=BB12_77 Depth=1
	s_mov_b32 s20, 0
	s_mov_b32 s45, 0
                                        ; implicit-def: $sgpr21
                                        ; implicit-def: $sgpr44
	s_branch .LBB12_407
.LBB12_406:                             ;   in Loop: Header=BB12_407 Depth=2
	s_or_b32 exec_lo, exec_lo, s47
	s_delay_alu instid0(SALU_CYCLE_1) | instskip(NEXT) | instid1(SALU_CYCLE_1)
	s_and_b32 s46, exec_lo, s56
	s_or_b32 s20, s46, s20
	s_and_not1_b32 s21, s21, exec_lo
	s_and_b32 s46, s44, exec_lo
	s_delay_alu instid0(SALU_CYCLE_1)
	s_or_b32 s21, s21, s46
	s_and_not1_b32 exec_lo, exec_lo, s20
	s_cbranch_execz .LBB12_466
.LBB12_407:                             ;   Parent Loop BB12_77 Depth=1
                                        ; =>  This Inner Loop Header: Depth=2
	s_add_co_i32 s45, s45, 1
	s_delay_alu instid0(SALU_CYCLE_1) | instskip(SKIP_1) | instid1(SALU_CYCLE_1)
	s_cmp_lg_u32 s45, 0x2710
	s_cselect_b32 s46, -1, 0
	s_and_b32 vcc_lo, exec_lo, s46
	s_cbranch_vccz .LBB12_409
; %bb.408:                              ;   in Loop: Header=BB12_407 Depth=2
	s_mov_b32 s56, -1
	s_or_b32 s44, s44, exec_lo
	s_and_saveexec_b32 s47, s46
	s_cbranch_execz .LBB12_406
	s_branch .LBB12_410
.LBB12_409:                             ;   in Loop: Header=BB12_407 Depth=2
	s_trap 2
	ds_load_b64 v[10:11], v0
	s_and_not1_b32 s46, s46, exec_lo
	s_mov_b32 s45, 0
	s_wait_storecnt 0x0
	s_wait_loadcnt_dscnt 0x0
	flat_load_b32 v10, v[10:11] scope:SCOPE_SYS
	s_wait_loadcnt_dscnt 0x0
	global_inv scope:SCOPE_SYS
	v_cmp_eq_u32_e32 vcc_lo, 0, v10
	s_and_b32 s47, vcc_lo, exec_lo
	s_delay_alu instid0(SALU_CYCLE_1)
	s_or_b32 s46, s46, s47
	s_mov_b32 s56, -1
	s_or_b32 s44, s44, exec_lo
	s_and_saveexec_b32 s47, s46
	s_cbranch_execz .LBB12_406
.LBB12_410:                             ;   in Loop: Header=BB12_407 Depth=2
	s_sleep 1
	s_trap 2
	ds_load_b64 v[10:11], v0
	s_wait_dscnt 0x0
	s_and_not1_b32 s44, s44, exec_lo
	v_cmp_ge_u64_e32 vcc_lo, v[10:11], v[26:27]
	s_or_not1_b32 s56, vcc_lo, exec_lo
	s_branch .LBB12_406
.LBB12_411:                             ;   in Loop: Header=BB12_77 Depth=1
	s_or_b32 exec_lo, exec_lo, s20
	s_and_saveexec_b32 s20, s21
	s_delay_alu instid0(SALU_CYCLE_1)
	s_xor_b32 s20, exec_lo, s20
	s_cbranch_execz .LBB12_413
; %bb.412:                              ;   in Loop: Header=BB12_77 Depth=1
	ds_store_b32 v0, v118
	s_trap 2
.LBB12_413:                             ;   in Loop: Header=BB12_77 Depth=1
	s_or_b32 exec_lo, exec_lo, s19
	;;#ASMSTART
	s_wakeup
	;;#ASMEND
.LBB12_414:                             ;   in Loop: Header=BB12_77 Depth=1
	s_or_b32 exec_lo, exec_lo, s18
.LBB12_415:                             ;   in Loop: Header=BB12_77 Depth=1
	s_and_not1_saveexec_b32 s17, s17
	s_cbranch_execz .LBB12_417
; %bb.416:                              ;   in Loop: Header=BB12_77 Depth=1
	;;#ASMSTART
	s_waitcnt lgkmcnt(0) vmcnt(0)
	;;#ASMEND
	s_barrier_signal -1
	s_barrier_wait -1
.LBB12_417:                             ;   in Loop: Header=BB12_77 Depth=1
	s_or_b32 exec_lo, exec_lo, s17
	v_and_b32_e32 v10, 16, v116
.LBB12_418:                             ;   in Loop: Header=BB12_77 Depth=1
	s_or_b32 exec_lo, exec_lo, s16
	s_delay_alu instid0(VALU_DEP_1) | instskip(SKIP_1) | instid1(SALU_CYCLE_1)
	v_cmp_ne_u32_e32 vcc_lo, 0, v10
	s_xor_b32 s16, s5, -1
	s_and_b32 s17, vcc_lo, s16
	s_delay_alu instid0(SALU_CYCLE_1)
	s_and_saveexec_b32 s16, s17
	s_cbranch_execz .LBB12_420
; %bb.419:                              ;   in Loop: Header=BB12_77 Depth=1
	global_wb scope:SCOPE_SYS
	s_wait_storecnt 0x0
	s_wait_loadcnt_dscnt 0x0
	flat_store_b32 v[28:29], v118 scope:SCOPE_SYS
.LBB12_420:                             ;   in Loop: Header=BB12_77 Depth=1
	s_wait_xcnt 0x0
	s_or_b32 exec_lo, exec_lo, s16
	v_and_b32_e32 v10, 48, v116
	s_mov_b32 s16, exec_lo
	s_delay_alu instid0(VALU_DEP_1)
	v_cmpx_ne_u32_e32 0, v10
	s_cbranch_execz .LBB12_422
; %bb.421:                              ;   in Loop: Header=BB12_77 Depth=1
	v_add_nc_u64_e32 v[8:9], 1, v[8:9]
	global_wb scope:SCOPE_SYS
	s_wait_storecnt 0x0
	s_wait_loadcnt_dscnt 0x0
	flat_store_b64 v[20:21], v[8:9] scope:SCOPE_SYS
.LBB12_422:                             ;   in Loop: Header=BB12_77 Depth=1
	s_wait_xcnt 0x0
	s_or_b32 exec_lo, exec_lo, s16
	v_mov_b32_e32 v12, v86
.LBB12_423:                             ;   in Loop: Header=BB12_77 Depth=1
	s_or_b32 exec_lo, exec_lo, s42
	s_mov_b32 s16, 0
	s_and_saveexec_b32 s17, s14
	s_cbranch_execz .LBB12_565
; %bb.424:                              ;   in Loop: Header=BB12_77 Depth=1
	v_sub_nc_u32_e32 v10, v43, v12
	v_and_b32_e32 v11, 12, v116
	s_mov_b32 s18, exec_lo
	s_delay_alu instid0(VALU_DEP_2) | instskip(NEXT) | instid1(VALU_DEP_2)
	v_min_i32_e32 v10, v86, v10
	v_cmpx_ne_u32_e32 0, v11
	s_cbranch_execz .LBB12_434
; %bb.425:                              ;   in Loop: Header=BB12_77 Depth=1
	v_and_b32_e32 v34, 8, v116
	v_add_nc_u64_e32 v[12:13], 1, v[8:9]
	s_mov_b32 s19, exec_lo
	s_wait_loadcnt_dscnt 0x1
	s_delay_alu instid0(VALU_DEP_2) | instskip(NEXT) | instid1(VALU_DEP_1)
	v_add_nc_u64_e32 v[86:87], v[32:33], v[34:35]
	v_cmpx_lt_u64_e64 v[86:87], v[12:13]
	s_cbranch_execz .LBB12_442
; %bb.426:                              ;   in Loop: Header=BB12_77 Depth=1
	v_and_b32_e32 v9, 64, v116
	s_mov_b32 s20, 0
	s_mov_b32 s44, 0
                                        ; implicit-def: $sgpr21
                                        ; implicit-def: $sgpr42
                                        ; implicit-def: $sgpr43
	s_delay_alu instid0(VALU_DEP_1)
	v_cmp_eq_u32_e32 vcc_lo, 0, v9
	s_branch .LBB12_430
.LBB12_427:                             ;   in Loop: Header=BB12_430 Depth=2
	s_wait_loadcnt_dscnt 0x0
	v_add_nc_u64_e32 v[86:87], v[32:33], v[34:35]
	s_or_b32 s47, s47, exec_lo
	s_delay_alu instid0(VALU_DEP_1)
	v_cmp_ge_u64_e64 s16, v[86:87], v[12:13]
	s_or_not1_b32 s46, s16, exec_lo
.LBB12_428:                             ;   in Loop: Header=BB12_430 Depth=2
	s_or_b32 exec_lo, exec_lo, s57
	s_delay_alu instid0(SALU_CYCLE_1)
	s_and_not1_b32 s16, s43, exec_lo
	s_and_b32 s43, s47, exec_lo
	s_and_not1_b32 s42, s42, exec_lo
	s_and_b32 s46, s46, exec_lo
	s_or_b32 s43, s16, s43
	s_or_b32 s42, s42, s46
.LBB12_429:                             ;   in Loop: Header=BB12_430 Depth=2
	s_or_b32 exec_lo, exec_lo, s45
	s_delay_alu instid0(SALU_CYCLE_1) | instskip(NEXT) | instid1(SALU_CYCLE_1)
	s_and_b32 s16, exec_lo, s42
	s_or_b32 s20, s16, s20
	s_and_not1_b32 s16, s21, exec_lo
	s_and_b32 s21, s43, exec_lo
	s_delay_alu instid0(SALU_CYCLE_1)
	s_or_b32 s21, s16, s21
	s_and_not1_b32 exec_lo, exec_lo, s20
	s_cbranch_execz .LBB12_439
.LBB12_430:                             ;   Parent Loop BB12_77 Depth=1
                                        ; =>  This Inner Loop Header: Depth=2
	s_sleep 1
	s_wait_loadcnt_dscnt 0x0
	flat_load_b64 v[32:33], v[20:21] scope:SCOPE_SYS
	s_or_b32 s43, s43, exec_lo
	s_or_b32 s42, s42, exec_lo
                                        ; implicit-def: $vgpr9
	s_wait_xcnt 0x0
	s_and_saveexec_b32 s45, vcc_lo
	s_cbranch_execz .LBB12_429
; %bb.431:                              ;   in Loop: Header=BB12_430 Depth=2
	s_cmp_lt_i32 s44, 0x270f
	s_mov_b32 s46, -1
	s_cselect_b32 s56, -1, 0
	s_cmp_gt_i32 s44, 0x270e
	s_cbranch_scc0 .LBB12_433
; %bb.432:                              ;   in Loop: Header=BB12_430 Depth=2
	s_trap 2
	ds_load_b64 v[86:87], v0
	s_and_not1_b32 s44, s56, exec_lo
	s_mov_b32 s47, 0
	s_wait_storecnt 0x0
	s_wait_loadcnt_dscnt 0x0
	flat_load_b32 v9, v[86:87] scope:SCOPE_SYS
	s_wait_loadcnt_dscnt 0x0
	global_inv scope:SCOPE_SYS
	v_cmp_eq_u32_e64 s16, 0, v9
	s_and_b32 s16, s16, exec_lo
	s_delay_alu instid0(SALU_CYCLE_1)
	s_or_b32 s56, s44, s16
	s_mov_b32 s44, 0
	s_and_saveexec_b32 s57, s56
	s_cbranch_execz .LBB12_428
	s_branch .LBB12_427
.LBB12_433:                             ;   in Loop: Header=BB12_430 Depth=2
	s_add_co_i32 s44, s44, 1
	s_mov_b32 s47, -1
                                        ; implicit-def: $vgpr9
	s_and_saveexec_b32 s57, s56
	s_cbranch_execz .LBB12_428
	s_branch .LBB12_427
.LBB12_434:                             ;   in Loop: Header=BB12_77 Depth=1
	s_or_b32 exec_lo, exec_lo, s18
	s_and_saveexec_b32 s16, s3
	s_cbranch_execnz .LBB12_455
.LBB12_435:                             ;   in Loop: Header=BB12_77 Depth=1
	s_or_b32 exec_lo, exec_lo, s16
                                        ; implicit-def: $vgpr11
	s_and_saveexec_b32 s16, s12
	s_delay_alu instid0(SALU_CYCLE_1)
	s_xor_b32 s18, exec_lo, s16
	s_cbranch_execz .LBB12_524
.LBB12_436:                             ;   in Loop: Header=BB12_77 Depth=1
	s_trap 2
	ds_load_b32 v11, v0
	v_cmp_lt_i32_e32 vcc_lo, 0, v10
	s_wait_dscnt 0x0
	v_readfirstlane_b32 s16, v11
	v_and_b32_e32 v11, 16, v116
	s_cmp_eq_u32 s16, 0
	s_delay_alu instid0(VALU_DEP_1) | instskip(SKIP_3) | instid1(SALU_CYCLE_1)
	v_cmp_ne_u32_e64 s16, 0, v11
	s_cselect_b32 s19, -1, 0
	v_and_b32_e32 v11, 16, v116
	s_and_b32 s19, vcc_lo, s19
	s_and_b32 s19, s16, s19
	s_delay_alu instid0(SALU_CYCLE_1)
	s_and_saveexec_b32 s16, s19
	s_cbranch_execz .LBB12_438
; %bb.437:                              ;   in Loop: Header=BB12_77 Depth=1
	v_mov_b32_e32 v11, 1
	global_wb scope:SCOPE_SYS
	s_wait_loadcnt 0x0
	s_wait_storecnt 0x0
	global_inv scope:SCOPE_SYS
.LBB12_438:                             ;   in Loop: Header=BB12_77 Depth=1
	s_or_b32 exec_lo, exec_lo, s16
	s_and_not1_saveexec_b32 s16, s18
	s_cbranch_execz .LBB12_562
	s_branch .LBB12_525
.LBB12_439:                             ;   in Loop: Header=BB12_77 Depth=1
	s_or_b32 exec_lo, exec_lo, s20
	s_xor_b32 s16, s21, -1
	s_delay_alu instid0(SALU_CYCLE_1) | instskip(NEXT) | instid1(SALU_CYCLE_1)
	s_and_saveexec_b32 s20, s16
	s_xor_b32 s16, exec_lo, s20
	s_cbranch_execz .LBB12_441
; %bb.440:                              ;   in Loop: Header=BB12_77 Depth=1
	v_or_b32_e32 v116, 64, v116
	s_wait_storecnt 0x0
	s_wait_loadcnt_dscnt 0x0
	ds_store_b32 v0, v9
	s_trap 2
.LBB12_441:                             ;   in Loop: Header=BB12_77 Depth=1
	s_or_b32 exec_lo, exec_lo, s16
.LBB12_442:                             ;   in Loop: Header=BB12_77 Depth=1
	s_delay_alu instid0(SALU_CYCLE_1) | instskip(SKIP_3) | instid1(VALU_DEP_1)
	s_or_b32 exec_lo, exec_lo, s19
	v_and_b32_e32 v9, 0x108, v116
	s_mov_b32 s16, exec_lo
	;;#ASMSTART
	s_wakeup
	;;#ASMEND
                                        ; implicit-def: $vgpr86_vgpr87
	v_cmpx_ne_u32_e32 0x108, v9
	s_xor_b32 s16, exec_lo, s16
; %bb.443:                              ;   in Loop: Header=BB12_77 Depth=1
	v_dual_mov_b32 v87, v35 :: v_dual_bitop2_b32 v86, 7, v8 bitop3:0x40
; %bb.444:                              ;   in Loop: Header=BB12_77 Depth=1
	s_and_not1_saveexec_b32 s16, s16
	s_cbranch_execz .LBB12_446
; %bb.445:                              ;   in Loop: Header=BB12_77 Depth=1
	v_dual_ashrrev_i32 v11, 31, v10 :: v_dual_bitop2_b32 v86, 7, v8 bitop3:0x40
	v_mov_b32_e32 v87, v35
	s_delay_alu instid0(VALU_DEP_2)
	v_mad_nc_u64_u32 v[8:9], v86, 24, v[6:7]
	flat_store_b64 v[8:9], v[10:11] offset:8
.LBB12_446:                             ;   in Loop: Header=BB12_77 Depth=1
	s_wait_xcnt 0x0
	s_or_b32 exec_lo, exec_lo, s16
	v_and_b32_e32 v8, 0x100, v116
	s_mov_b32 s16, -1
	s_delay_alu instid0(VALU_DEP_1)
	v_cmp_ne_u32_e32 vcc_lo, 0, v8
                                        ; implicit-def: $vgpr8_vgpr9
	s_and_saveexec_b32 s19, vcc_lo
	s_cbranch_execz .LBB12_450
; %bb.447:                              ;   in Loop: Header=BB12_77 Depth=1
	v_mad_nc_u64_u32 v[96:97], v86, 24, v[6:7]
	s_delay_alu instid0(VALU_DEP_1)
	v_mad_u32 v97, v87, 24, v97
	flat_load_b32 v8, v[96:97]
	s_wait_loadcnt_dscnt 0x0
	v_cmp_eq_u32_e64 s16, 1, v8
	v_cmp_ne_u32_e32 vcc_lo, 1, v8
                                        ; implicit-def: $vgpr8_vgpr9
	s_wait_xcnt 0x0
	s_and_saveexec_b32 s20, s16
	s_cbranch_execz .LBB12_449
; %bb.448:                              ;   in Loop: Header=BB12_77 Depth=1
	flat_load_b32 v8, v[96:97] offset:4 scope:SCOPE_SYS
	s_wait_loadcnt_dscnt 0x0
	v_ashrrev_i32_e32 v9, 31, v8
.LBB12_449:                             ;   in Loop: Header=BB12_77 Depth=1
	s_wait_xcnt 0x0
	s_or_b32 exec_lo, exec_lo, s20
	s_delay_alu instid0(SALU_CYCLE_1)
	s_or_not1_b32 s16, vcc_lo, exec_lo
.LBB12_450:                             ;   in Loop: Header=BB12_77 Depth=1
	s_or_b32 exec_lo, exec_lo, s19
	s_and_saveexec_b32 s19, s16
; %bb.451:                              ;   in Loop: Header=BB12_77 Depth=1
	v_mul_u64_e32 v[8:9], v[86:87], v[22:23]
; %bb.452:                              ;   in Loop: Header=BB12_77 Depth=1
	s_or_b32 exec_lo, exec_lo, s19
	v_cmp_eq_u32_e32 vcc_lo, 0, v34
	s_delay_alu instid0(VALU_DEP_2) | instskip(SKIP_3) | instid1(VALU_DEP_1)
	v_add_nc_u64_e32 v[8:9], v[24:25], v[8:9]
	v_and_b32_e32 v34, 0x2000, v116
	s_mov_b32 s16, exec_lo
	v_cndmask_b32_e32 v11, 0xd0, v119, vcc_lo
	v_add_nc_u32_e32 v11, v0, v11
	ds_store_b64 v11, v[8:9] offset:584
	v_cmpx_ne_u32_e32 0, v34
	s_cbranch_execz .LBB12_454
; %bb.453:                              ;   in Loop: Header=BB12_77 Depth=1
	ds_load_b64 v[8:9], v0 offset:872
	s_wait_dscnt 0x0
	v_add_nc_u64_e32 v[8:9], 1, v[8:9]
	ds_store_b64 v0, v[8:9] offset:872
.LBB12_454:                             ;   in Loop: Header=BB12_77 Depth=1
	s_or_b32 exec_lo, exec_lo, s16
	v_mov_b64_e32 v[8:9], v[12:13]
	s_or_b32 exec_lo, exec_lo, s18
	s_and_saveexec_b32 s16, s3
	s_cbranch_execz .LBB12_435
.LBB12_455:                             ;   in Loop: Header=BB12_77 Depth=1
	s_and_saveexec_b32 s18, s4
	s_delay_alu instid0(SALU_CYCLE_1)
	s_xor_b32 s18, exec_lo, s18
	s_cbranch_execz .LBB12_521
; %bb.456:                              ;   in Loop: Header=BB12_77 Depth=1
	s_and_saveexec_b32 s19, s7
	s_cbranch_execz .LBB12_520
; %bb.457:                              ;   in Loop: Header=BB12_77 Depth=1
	s_mov_b32 s21, exec_lo
	s_mov_b32 s20, exec_lo
	v_mbcnt_lo_u32_b32 v11, s21, 0
	global_wb scope:SCOPE_DEV
	s_wait_storecnt 0x0
	s_wait_loadcnt_dscnt 0x0
	global_inv scope:SCOPE_DEV
	v_cmpx_eq_u32_e32 0, v11
	s_cbranch_execz .LBB12_459
; %bb.458:                              ;   in Loop: Header=BB12_77 Depth=1
	s_bcnt1_i32_b32 s21, s21
	s_delay_alu instid0(SALU_CYCLE_1)
	v_mov_b32_e32 v34, s21
	s_wait_loadcnt 0x0
	ds_add_u64 v0, v[34:35]
	s_trap 2
.LBB12_459:                             ;   in Loop: Header=BB12_77 Depth=1
	s_or_b32 exec_lo, exec_lo, s20
	s_trap 2
	ds_load_b64 v[12:13], v0
	s_wait_dscnt 0x0
	v_add_nc_u64_e32 v[26:27], v[26:27], v[36:37]
	s_mov_b32 s20, exec_lo
	s_delay_alu instid0(VALU_DEP_1)
	v_cmpx_lt_u64_e64 v[12:13], v[26:27]
	s_cbranch_execz .LBB12_519
; %bb.460:                              ;   in Loop: Header=BB12_77 Depth=1
	s_mov_b32 s21, 0
	s_mov_b32 s44, 0
                                        ; implicit-def: $sgpr42
                                        ; implicit-def: $sgpr43
	s_branch .LBB12_462
.LBB12_461:                             ;   in Loop: Header=BB12_462 Depth=2
	s_or_b32 exec_lo, exec_lo, s46
	s_delay_alu instid0(SALU_CYCLE_1) | instskip(NEXT) | instid1(SALU_CYCLE_1)
	s_and_b32 s45, exec_lo, s47
	s_or_b32 s21, s45, s21
	s_and_not1_b32 s42, s42, exec_lo
	s_and_b32 s45, s43, exec_lo
	s_delay_alu instid0(SALU_CYCLE_1)
	s_or_b32 s42, s42, s45
	s_and_not1_b32 exec_lo, exec_lo, s21
	s_cbranch_execz .LBB12_517
.LBB12_462:                             ;   Parent Loop BB12_77 Depth=1
                                        ; =>  This Inner Loop Header: Depth=2
	s_add_co_i32 s44, s44, 1
	s_delay_alu instid0(SALU_CYCLE_1) | instskip(SKIP_1) | instid1(SALU_CYCLE_1)
	s_cmp_lg_u32 s44, 0x2710
	s_cselect_b32 s45, -1, 0
	s_and_b32 vcc_lo, exec_lo, s45
	s_cbranch_vccz .LBB12_464
; %bb.463:                              ;   in Loop: Header=BB12_462 Depth=2
	s_mov_b32 s47, -1
	s_or_b32 s43, s43, exec_lo
	s_and_saveexec_b32 s46, s45
	s_cbranch_execz .LBB12_461
	s_branch .LBB12_465
.LBB12_464:                             ;   in Loop: Header=BB12_462 Depth=2
	s_trap 2
	ds_load_b64 v[12:13], v0
	s_and_not1_b32 s45, s45, exec_lo
	s_mov_b32 s44, 0
	s_wait_loadcnt_dscnt 0x0
	flat_load_b32 v11, v[12:13] scope:SCOPE_SYS
	s_wait_loadcnt_dscnt 0x0
	global_inv scope:SCOPE_SYS
	v_cmp_eq_u32_e32 vcc_lo, 0, v11
	s_and_b32 s46, vcc_lo, exec_lo
	s_delay_alu instid0(SALU_CYCLE_1)
	s_or_b32 s45, s45, s46
	s_mov_b32 s47, -1
	s_or_b32 s43, s43, exec_lo
	s_and_saveexec_b32 s46, s45
	s_cbranch_execz .LBB12_461
.LBB12_465:                             ;   in Loop: Header=BB12_462 Depth=2
	s_sleep 1
	s_trap 2
	ds_load_b64 v[12:13], v0
	s_wait_dscnt 0x0
	s_and_not1_b32 s43, s43, exec_lo
	v_cmp_ge_u64_e32 vcc_lo, v[12:13], v[26:27]
	s_or_not1_b32 s47, vcc_lo, exec_lo
	s_branch .LBB12_461
.LBB12_466:                             ;   in Loop: Header=BB12_77 Depth=1
	s_or_b32 exec_lo, exec_lo, s20
	s_and_saveexec_b32 s20, s21
	s_delay_alu instid0(SALU_CYCLE_1)
	s_xor_b32 s20, exec_lo, s20
	s_cbranch_execz .LBB12_468
; %bb.467:                              ;   in Loop: Header=BB12_77 Depth=1
	ds_store_b32 v0, v118
	s_trap 2
.LBB12_468:                             ;   in Loop: Header=BB12_77 Depth=1
	s_or_b32 exec_lo, exec_lo, s19
	;;#ASMSTART
	s_wakeup
	;;#ASMEND
.LBB12_469:                             ;   in Loop: Header=BB12_77 Depth=1
	s_or_b32 exec_lo, exec_lo, s18
.LBB12_470:                             ;   in Loop: Header=BB12_77 Depth=1
	s_and_not1_saveexec_b32 s17, s17
	s_cbranch_execz .LBB12_472
; %bb.471:                              ;   in Loop: Header=BB12_77 Depth=1
	;;#ASMSTART
	s_waitcnt lgkmcnt(0) vmcnt(0)
	;;#ASMEND
	s_barrier_signal -1
	s_barrier_wait -1
.LBB12_472:                             ;   in Loop: Header=BB12_77 Depth=1
	s_or_b32 exec_lo, exec_lo, s17
	v_and_b32_e32 v10, 16, v116
.LBB12_473:                             ;   in Loop: Header=BB12_77 Depth=1
	s_or_b32 exec_lo, exec_lo, s16
	s_delay_alu instid0(SALU_CYCLE_1) | instskip(NEXT) | instid1(VALU_DEP_1)
	s_mov_b32 s16, exec_lo
	v_cmpx_ne_u32_e32 0, v10
	s_cbranch_execz .LBB12_477
; %bb.474:                              ;   in Loop: Header=BB12_77 Depth=1
	s_and_saveexec_b32 s17, s6
	s_cbranch_execz .LBB12_476
; %bb.475:                              ;   in Loop: Header=BB12_77 Depth=1
	global_wb scope:SCOPE_SYS
	s_wait_storecnt 0x0
	s_wait_loadcnt_dscnt 0x0
	flat_store_b32 v[28:29], v118 scope:SCOPE_SYS
.LBB12_476:                             ;   in Loop: Header=BB12_77 Depth=1
	s_wait_xcnt 0x0
	s_or_b32 exec_lo, exec_lo, s17
	v_add_nc_u64_e32 v[8:9], 1, v[8:9]
	global_wb scope:SCOPE_SYS
	s_wait_storecnt 0x0
	s_wait_loadcnt_dscnt 0x0
	flat_store_b64 v[20:21], v[8:9] scope:SCOPE_SYS
.LBB12_477:                             ;   in Loop: Header=BB12_77 Depth=1
	s_wait_xcnt 0x0
	s_or_b32 exec_lo, exec_lo, s16
	v_mov_b32_e32 v12, v86
.LBB12_478:                             ;   in Loop: Header=BB12_77 Depth=1
	s_or_b32 exec_lo, exec_lo, s43
	s_mov_b32 s18, 0
	s_mov_b32 s16, s40
	s_and_saveexec_b32 s17, s14
	s_cbranch_execz .LBB12_614
; %bb.479:                              ;   in Loop: Header=BB12_77 Depth=1
	v_sub_nc_u32_e32 v10, v43, v12
	v_and_b32_e32 v11, 8, v116
	s_mov_b32 s18, exec_lo
	s_delay_alu instid0(VALU_DEP_2) | instskip(NEXT) | instid1(VALU_DEP_2)
	v_min_i32_e32 v10, v86, v10
	v_cmpx_ne_u32_e32 0, v11
	s_cbranch_execz .LBB12_489
; %bb.480:                              ;   in Loop: Header=BB12_77 Depth=1
	s_wait_loadcnt_dscnt 0x1
	v_add_nc_u64_e32 v[86:87], 8, v[32:33]
	v_add_nc_u64_e32 v[12:13], 1, v[8:9]
	s_mov_b32 s19, exec_lo
	s_delay_alu instid0(VALU_DEP_1)
	v_cmpx_lt_u64_e64 v[86:87], v[12:13]
	s_cbranch_execz .LBB12_497
; %bb.481:                              ;   in Loop: Header=BB12_77 Depth=1
	v_and_b32_e32 v9, 64, v116
	s_mov_b32 s20, 0
	s_mov_b32 s45, 0
                                        ; implicit-def: $sgpr21
                                        ; implicit-def: $sgpr43
                                        ; implicit-def: $sgpr44
	s_delay_alu instid0(VALU_DEP_1)
	v_cmp_eq_u32_e32 vcc_lo, 0, v9
	s_branch .LBB12_485
.LBB12_482:                             ;   in Loop: Header=BB12_485 Depth=2
	s_wait_loadcnt_dscnt 0x0
	v_add_nc_u64_e32 v[86:87], 8, v[32:33]
	s_or_b32 s56, s56, exec_lo
	s_delay_alu instid0(VALU_DEP_1)
	v_cmp_ge_u64_e64 s16, v[86:87], v[12:13]
	s_or_not1_b32 s47, s16, exec_lo
.LBB12_483:                             ;   in Loop: Header=BB12_485 Depth=2
	s_or_b32 exec_lo, exec_lo, s58
	s_delay_alu instid0(SALU_CYCLE_1)
	s_and_not1_b32 s16, s44, exec_lo
	s_and_b32 s44, s56, exec_lo
	s_and_not1_b32 s43, s43, exec_lo
	s_and_b32 s47, s47, exec_lo
	s_or_b32 s44, s16, s44
	s_or_b32 s43, s43, s47
.LBB12_484:                             ;   in Loop: Header=BB12_485 Depth=2
	s_or_b32 exec_lo, exec_lo, s46
	s_delay_alu instid0(SALU_CYCLE_1) | instskip(NEXT) | instid1(SALU_CYCLE_1)
	s_and_b32 s16, exec_lo, s43
	s_or_b32 s20, s16, s20
	s_and_not1_b32 s16, s21, exec_lo
	s_and_b32 s21, s44, exec_lo
	s_delay_alu instid0(SALU_CYCLE_1)
	s_or_b32 s21, s16, s21
	s_and_not1_b32 exec_lo, exec_lo, s20
	s_cbranch_execz .LBB12_494
.LBB12_485:                             ;   Parent Loop BB12_77 Depth=1
                                        ; =>  This Inner Loop Header: Depth=2
	s_sleep 1
	s_wait_loadcnt_dscnt 0x0
	flat_load_b64 v[32:33], v[20:21] scope:SCOPE_SYS
	s_or_b32 s44, s44, exec_lo
	s_or_b32 s43, s43, exec_lo
                                        ; implicit-def: $vgpr9
	s_wait_xcnt 0x0
	s_and_saveexec_b32 s46, vcc_lo
	s_cbranch_execz .LBB12_484
; %bb.486:                              ;   in Loop: Header=BB12_485 Depth=2
	s_cmp_lt_i32 s45, 0x270f
	s_mov_b32 s47, -1
	s_cselect_b32 s57, -1, 0
	s_cmp_gt_i32 s45, 0x270e
	s_cbranch_scc0 .LBB12_488
; %bb.487:                              ;   in Loop: Header=BB12_485 Depth=2
	s_trap 2
	ds_load_b64 v[86:87], v0
	s_and_not1_b32 s45, s57, exec_lo
	s_mov_b32 s56, 0
	s_wait_storecnt 0x0
	s_wait_loadcnt_dscnt 0x0
	flat_load_b32 v9, v[86:87] scope:SCOPE_SYS
	s_wait_loadcnt_dscnt 0x0
	global_inv scope:SCOPE_SYS
	v_cmp_eq_u32_e64 s16, 0, v9
	s_and_b32 s16, s16, exec_lo
	s_delay_alu instid0(SALU_CYCLE_1)
	s_or_b32 s57, s45, s16
	s_mov_b32 s45, 0
	s_and_saveexec_b32 s58, s57
	s_cbranch_execz .LBB12_483
	s_branch .LBB12_482
.LBB12_488:                             ;   in Loop: Header=BB12_485 Depth=2
	s_add_co_i32 s45, s45, 1
	s_mov_b32 s56, -1
                                        ; implicit-def: $vgpr9
	s_and_saveexec_b32 s58, s57
	s_cbranch_execz .LBB12_483
	s_branch .LBB12_482
.LBB12_489:                             ;   in Loop: Header=BB12_77 Depth=1
	s_or_b32 exec_lo, exec_lo, s18
	s_and_saveexec_b32 s16, s3
	s_cbranch_execnz .LBB12_506
.LBB12_490:                             ;   in Loop: Header=BB12_77 Depth=1
	s_or_b32 exec_lo, exec_lo, s16
                                        ; implicit-def: $vgpr11
	s_and_saveexec_b32 s16, s12
	s_delay_alu instid0(SALU_CYCLE_1)
	s_xor_b32 s18, exec_lo, s16
	s_cbranch_execz .LBB12_543
.LBB12_491:                             ;   in Loop: Header=BB12_77 Depth=1
	s_trap 2
	ds_load_b32 v11, v0
	v_cmp_lt_i32_e32 vcc_lo, 0, v10
	s_wait_dscnt 0x0
	v_readfirstlane_b32 s16, v11
	v_and_b32_e32 v11, 16, v116
	s_cmp_eq_u32 s16, 0
	s_delay_alu instid0(VALU_DEP_1) | instskip(SKIP_3) | instid1(SALU_CYCLE_1)
	v_cmp_ne_u32_e64 s16, 0, v11
	s_cselect_b32 s19, -1, 0
	v_and_b32_e32 v11, 16, v116
	s_and_b32 s19, vcc_lo, s19
	s_and_b32 s19, s16, s19
	s_delay_alu instid0(SALU_CYCLE_1)
	s_and_saveexec_b32 s16, s19
	s_cbranch_execz .LBB12_493
; %bb.492:                              ;   in Loop: Header=BB12_77 Depth=1
	v_mov_b32_e32 v11, 1
	global_wb scope:SCOPE_SYS
	s_wait_loadcnt 0x0
	s_wait_storecnt 0x0
	global_inv scope:SCOPE_SYS
.LBB12_493:                             ;   in Loop: Header=BB12_77 Depth=1
	s_or_b32 exec_lo, exec_lo, s16
	s_and_not1_saveexec_b32 s16, s18
	s_cbranch_execz .LBB12_611
	s_branch .LBB12_544
.LBB12_494:                             ;   in Loop: Header=BB12_77 Depth=1
	s_or_b32 exec_lo, exec_lo, s20
	s_xor_b32 s16, s21, -1
	s_delay_alu instid0(SALU_CYCLE_1) | instskip(NEXT) | instid1(SALU_CYCLE_1)
	s_and_saveexec_b32 s20, s16
	s_xor_b32 s16, exec_lo, s20
	s_cbranch_execz .LBB12_496
; %bb.495:                              ;   in Loop: Header=BB12_77 Depth=1
	v_or_b32_e32 v116, 64, v116
	s_wait_storecnt 0x0
	s_wait_loadcnt_dscnt 0x0
	ds_store_b32 v0, v9
	s_trap 2
.LBB12_496:                             ;   in Loop: Header=BB12_77 Depth=1
	s_or_b32 exec_lo, exec_lo, s16
.LBB12_497:                             ;   in Loop: Header=BB12_77 Depth=1
	s_delay_alu instid0(SALU_CYCLE_1) | instskip(SKIP_4) | instid1(VALU_DEP_2)
	s_or_b32 exec_lo, exec_lo, s19
	v_and_b32_e32 v9, 0x100, v116
	v_and_b32_e32 v34, 7, v8
	s_mov_b32 s16, -1
	;;#ASMSTART
	s_wakeup
	;;#ASMEND
	v_cmp_ne_u32_e32 vcc_lo, 0, v9
                                        ; implicit-def: $vgpr8_vgpr9
	s_and_saveexec_b32 s19, vcc_lo
	s_cbranch_execz .LBB12_501
; %bb.498:                              ;   in Loop: Header=BB12_77 Depth=1
	v_mad_nc_u64_u32 v[86:87], v34, 24, v[6:7]
	v_ashrrev_i32_e32 v11, 31, v10
	s_clause 0x1
	flat_load_b32 v8, v[86:87]
	flat_store_b64 v[86:87], v[10:11] offset:8
	s_wait_loadcnt_dscnt 0x1
	v_cmp_eq_u32_e64 s16, 1, v8
	v_cmp_ne_u32_e32 vcc_lo, 1, v8
                                        ; implicit-def: $vgpr8_vgpr9
	s_wait_xcnt 0x0
	s_and_saveexec_b32 s20, s16
	s_cbranch_execz .LBB12_500
; %bb.499:                              ;   in Loop: Header=BB12_77 Depth=1
	flat_load_b32 v8, v[86:87] offset:4 scope:SCOPE_SYS
	s_wait_loadcnt_dscnt 0x0
	v_ashrrev_i32_e32 v9, 31, v8
.LBB12_500:                             ;   in Loop: Header=BB12_77 Depth=1
	s_wait_xcnt 0x0
	s_or_b32 exec_lo, exec_lo, s20
	s_delay_alu instid0(SALU_CYCLE_1)
	s_or_not1_b32 s16, vcc_lo, exec_lo
.LBB12_501:                             ;   in Loop: Header=BB12_77 Depth=1
	s_or_b32 exec_lo, exec_lo, s19
	s_and_saveexec_b32 s19, s16
; %bb.502:                              ;   in Loop: Header=BB12_77 Depth=1
	v_mul_u64_e32 v[8:9], v[34:35], v[22:23]
; %bb.503:                              ;   in Loop: Header=BB12_77 Depth=1
	s_or_b32 exec_lo, exec_lo, s19
	s_delay_alu instid0(VALU_DEP_1)
	v_add_nc_u64_e32 v[8:9], v[24:25], v[8:9]
	v_and_b32_e32 v11, 0x2000, v116
	s_mov_b32 s16, exec_lo
	ds_store_b64 v0, v[8:9] offset:792
	v_cmpx_ne_u32_e32 0, v11
	s_cbranch_execz .LBB12_505
; %bb.504:                              ;   in Loop: Header=BB12_77 Depth=1
	ds_load_b64 v[8:9], v0 offset:872
	s_wait_dscnt 0x0
	v_add_nc_u64_e32 v[8:9], 1, v[8:9]
	ds_store_b64 v0, v[8:9] offset:872
.LBB12_505:                             ;   in Loop: Header=BB12_77 Depth=1
	s_or_b32 exec_lo, exec_lo, s16
	v_mov_b64_e32 v[8:9], v[12:13]
	s_or_b32 exec_lo, exec_lo, s18
	s_and_saveexec_b32 s16, s3
	s_cbranch_execz .LBB12_490
.LBB12_506:                             ;   in Loop: Header=BB12_77 Depth=1
	s_and_saveexec_b32 s18, s4
	s_delay_alu instid0(SALU_CYCLE_1)
	s_xor_b32 s18, exec_lo, s18
	s_cbranch_execz .LBB12_540
; %bb.507:                              ;   in Loop: Header=BB12_77 Depth=1
	s_and_saveexec_b32 s19, s7
	s_cbranch_execz .LBB12_539
; %bb.508:                              ;   in Loop: Header=BB12_77 Depth=1
	s_mov_b32 s21, exec_lo
	s_mov_b32 s20, exec_lo
	v_mbcnt_lo_u32_b32 v11, s21, 0
	global_wb scope:SCOPE_DEV
	s_wait_storecnt 0x0
	s_wait_loadcnt_dscnt 0x0
	global_inv scope:SCOPE_DEV
	v_cmpx_eq_u32_e32 0, v11
	s_cbranch_execz .LBB12_510
; %bb.509:                              ;   in Loop: Header=BB12_77 Depth=1
	s_bcnt1_i32_b32 s21, s21
	s_delay_alu instid0(SALU_CYCLE_1)
	v_mov_b32_e32 v34, s21
	s_wait_loadcnt 0x0
	ds_add_u64 v0, v[34:35]
	s_trap 2
.LBB12_510:                             ;   in Loop: Header=BB12_77 Depth=1
	s_or_b32 exec_lo, exec_lo, s20
	s_trap 2
	ds_load_b64 v[12:13], v0
	s_wait_dscnt 0x0
	v_add_nc_u64_e32 v[26:27], v[26:27], v[36:37]
	s_mov_b32 s20, exec_lo
	s_delay_alu instid0(VALU_DEP_1)
	v_cmpx_lt_u64_e64 v[12:13], v[26:27]
	s_cbranch_execz .LBB12_538
; %bb.511:                              ;   in Loop: Header=BB12_77 Depth=1
	s_mov_b32 s21, 0
	s_mov_b32 s45, 0
                                        ; implicit-def: $sgpr43
                                        ; implicit-def: $sgpr44
	s_branch .LBB12_513
.LBB12_512:                             ;   in Loop: Header=BB12_513 Depth=2
	s_or_b32 exec_lo, exec_lo, s47
	s_delay_alu instid0(SALU_CYCLE_1) | instskip(NEXT) | instid1(SALU_CYCLE_1)
	s_and_b32 s46, exec_lo, s56
	s_or_b32 s21, s46, s21
	s_and_not1_b32 s43, s43, exec_lo
	s_and_b32 s46, s44, exec_lo
	s_delay_alu instid0(SALU_CYCLE_1)
	s_or_b32 s43, s43, s46
	s_and_not1_b32 exec_lo, exec_lo, s21
	s_cbranch_execz .LBB12_536
.LBB12_513:                             ;   Parent Loop BB12_77 Depth=1
                                        ; =>  This Inner Loop Header: Depth=2
	s_add_co_i32 s45, s45, 1
	s_delay_alu instid0(SALU_CYCLE_1) | instskip(SKIP_1) | instid1(SALU_CYCLE_1)
	s_cmp_lg_u32 s45, 0x2710
	s_cselect_b32 s46, -1, 0
	s_and_b32 vcc_lo, exec_lo, s46
	s_cbranch_vccz .LBB12_515
; %bb.514:                              ;   in Loop: Header=BB12_513 Depth=2
	s_mov_b32 s56, -1
	s_or_b32 s44, s44, exec_lo
	s_and_saveexec_b32 s47, s46
	s_cbranch_execz .LBB12_512
	s_branch .LBB12_516
.LBB12_515:                             ;   in Loop: Header=BB12_513 Depth=2
	s_trap 2
	ds_load_b64 v[12:13], v0
	s_and_not1_b32 s46, s46, exec_lo
	s_mov_b32 s45, 0
	s_wait_loadcnt_dscnt 0x0
	flat_load_b32 v11, v[12:13] scope:SCOPE_SYS
	s_wait_loadcnt_dscnt 0x0
	global_inv scope:SCOPE_SYS
	v_cmp_eq_u32_e32 vcc_lo, 0, v11
	s_and_b32 s47, vcc_lo, exec_lo
	s_delay_alu instid0(SALU_CYCLE_1)
	s_or_b32 s46, s46, s47
	s_mov_b32 s56, -1
	s_or_b32 s44, s44, exec_lo
	s_and_saveexec_b32 s47, s46
	s_cbranch_execz .LBB12_512
.LBB12_516:                             ;   in Loop: Header=BB12_513 Depth=2
	s_sleep 1
	s_trap 2
	ds_load_b64 v[12:13], v0
	s_wait_dscnt 0x0
	s_and_not1_b32 s44, s44, exec_lo
	v_cmp_ge_u64_e32 vcc_lo, v[12:13], v[26:27]
	s_or_not1_b32 s56, vcc_lo, exec_lo
	s_branch .LBB12_512
.LBB12_517:                             ;   in Loop: Header=BB12_77 Depth=1
	s_or_b32 exec_lo, exec_lo, s21
	s_and_saveexec_b32 s21, s42
	s_delay_alu instid0(SALU_CYCLE_1)
	s_xor_b32 s21, exec_lo, s21
	s_cbranch_execz .LBB12_519
; %bb.518:                              ;   in Loop: Header=BB12_77 Depth=1
	ds_store_b32 v0, v118
	s_trap 2
.LBB12_519:                             ;   in Loop: Header=BB12_77 Depth=1
	s_or_b32 exec_lo, exec_lo, s20
	;;#ASMSTART
	s_wakeup
	;;#ASMEND
.LBB12_520:                             ;   in Loop: Header=BB12_77 Depth=1
	s_or_b32 exec_lo, exec_lo, s19
.LBB12_521:                             ;   in Loop: Header=BB12_77 Depth=1
	s_and_not1_saveexec_b32 s18, s18
	s_cbranch_execz .LBB12_523
; %bb.522:                              ;   in Loop: Header=BB12_77 Depth=1
	global_wb scope:SCOPE_DEV
	s_wait_storecnt 0x0
	s_wait_loadcnt_dscnt 0x0
	global_inv scope:SCOPE_DEV
	s_barrier_signal -1
	s_barrier_wait -1
.LBB12_523:                             ;   in Loop: Header=BB12_77 Depth=1
	s_or_b32 exec_lo, exec_lo, s18
	s_delay_alu instid0(SALU_CYCLE_1) | instskip(SKIP_1) | instid1(SALU_CYCLE_1)
	s_or_b32 exec_lo, exec_lo, s16
                                        ; implicit-def: $vgpr11
	s_and_saveexec_b32 s16, s12
	s_xor_b32 s18, exec_lo, s16
	s_cbranch_execnz .LBB12_436
.LBB12_524:                             ;   in Loop: Header=BB12_77 Depth=1
	s_and_not1_saveexec_b32 s16, s18
	s_cbranch_execz .LBB12_562
.LBB12_525:                             ;   in Loop: Header=BB12_77 Depth=1
	s_and_saveexec_b32 s18, s4
	s_delay_alu instid0(SALU_CYCLE_1)
	s_xor_b32 s18, exec_lo, s18
	s_cbranch_execz .LBB12_559
; %bb.526:                              ;   in Loop: Header=BB12_77 Depth=1
	s_and_saveexec_b32 s19, s7
	s_cbranch_execz .LBB12_558
; %bb.527:                              ;   in Loop: Header=BB12_77 Depth=1
	s_mov_b32 s21, exec_lo
	s_mov_b32 s20, exec_lo
	v_mbcnt_lo_u32_b32 v10, s21, 0
	;;#ASMSTART
	s_waitcnt lgkmcnt(0) vmcnt(0)
	;;#ASMEND
	s_delay_alu instid0(VALU_DEP_1)
	v_cmpx_eq_u32_e32 0, v10
	s_cbranch_execz .LBB12_529
; %bb.528:                              ;   in Loop: Header=BB12_77 Depth=1
	s_bcnt1_i32_b32 s21, s21
	s_delay_alu instid0(SALU_CYCLE_1)
	v_mov_b32_e32 v34, s21
	s_wait_storecnt 0x0
	s_wait_loadcnt_dscnt 0x0
	ds_add_u64 v0, v[34:35]
	s_trap 2
.LBB12_529:                             ;   in Loop: Header=BB12_77 Depth=1
	s_or_b32 exec_lo, exec_lo, s20
	s_trap 2
	ds_load_b64 v[10:11], v0
	s_wait_dscnt 0x0
	v_add_nc_u64_e32 v[26:27], v[26:27], v[36:37]
	s_mov_b32 s20, exec_lo
	s_delay_alu instid0(VALU_DEP_1)
	v_cmpx_lt_u64_e64 v[10:11], v[26:27]
	s_cbranch_execz .LBB12_557
; %bb.530:                              ;   in Loop: Header=BB12_77 Depth=1
	s_mov_b32 s21, 0
	s_mov_b32 s44, 0
                                        ; implicit-def: $sgpr42
                                        ; implicit-def: $sgpr43
	s_branch .LBB12_532
.LBB12_531:                             ;   in Loop: Header=BB12_532 Depth=2
	s_or_b32 exec_lo, exec_lo, s46
	s_delay_alu instid0(SALU_CYCLE_1) | instskip(NEXT) | instid1(SALU_CYCLE_1)
	s_and_b32 s45, exec_lo, s47
	s_or_b32 s21, s45, s21
	s_and_not1_b32 s42, s42, exec_lo
	s_and_b32 s45, s43, exec_lo
	s_delay_alu instid0(SALU_CYCLE_1)
	s_or_b32 s42, s42, s45
	s_and_not1_b32 exec_lo, exec_lo, s21
	s_cbranch_execz .LBB12_555
.LBB12_532:                             ;   Parent Loop BB12_77 Depth=1
                                        ; =>  This Inner Loop Header: Depth=2
	s_add_co_i32 s44, s44, 1
	s_delay_alu instid0(SALU_CYCLE_1) | instskip(SKIP_1) | instid1(SALU_CYCLE_1)
	s_cmp_lg_u32 s44, 0x2710
	s_cselect_b32 s45, -1, 0
	s_and_b32 vcc_lo, exec_lo, s45
	s_cbranch_vccz .LBB12_534
; %bb.533:                              ;   in Loop: Header=BB12_532 Depth=2
	s_mov_b32 s47, -1
	s_or_b32 s43, s43, exec_lo
	s_and_saveexec_b32 s46, s45
	s_cbranch_execz .LBB12_531
	s_branch .LBB12_535
.LBB12_534:                             ;   in Loop: Header=BB12_532 Depth=2
	s_trap 2
	ds_load_b64 v[10:11], v0
	s_and_not1_b32 s45, s45, exec_lo
	s_mov_b32 s44, 0
	s_wait_storecnt 0x0
	s_wait_loadcnt_dscnt 0x0
	flat_load_b32 v10, v[10:11] scope:SCOPE_SYS
	s_wait_loadcnt_dscnt 0x0
	global_inv scope:SCOPE_SYS
	v_cmp_eq_u32_e32 vcc_lo, 0, v10
	s_and_b32 s46, vcc_lo, exec_lo
	s_delay_alu instid0(SALU_CYCLE_1)
	s_or_b32 s45, s45, s46
	s_mov_b32 s47, -1
	s_or_b32 s43, s43, exec_lo
	s_and_saveexec_b32 s46, s45
	s_cbranch_execz .LBB12_531
.LBB12_535:                             ;   in Loop: Header=BB12_532 Depth=2
	s_sleep 1
	s_trap 2
	ds_load_b64 v[10:11], v0
	s_wait_dscnt 0x0
	s_and_not1_b32 s43, s43, exec_lo
	v_cmp_ge_u64_e32 vcc_lo, v[10:11], v[26:27]
	s_or_not1_b32 s47, vcc_lo, exec_lo
	s_branch .LBB12_531
.LBB12_536:                             ;   in Loop: Header=BB12_77 Depth=1
	s_or_b32 exec_lo, exec_lo, s21
	s_and_saveexec_b32 s21, s43
	s_delay_alu instid0(SALU_CYCLE_1)
	s_xor_b32 s21, exec_lo, s21
	s_cbranch_execz .LBB12_538
; %bb.537:                              ;   in Loop: Header=BB12_77 Depth=1
	ds_store_b32 v0, v118
	s_trap 2
.LBB12_538:                             ;   in Loop: Header=BB12_77 Depth=1
	s_or_b32 exec_lo, exec_lo, s20
	;;#ASMSTART
	s_wakeup
	;;#ASMEND
.LBB12_539:                             ;   in Loop: Header=BB12_77 Depth=1
	s_or_b32 exec_lo, exec_lo, s19
.LBB12_540:                             ;   in Loop: Header=BB12_77 Depth=1
	s_and_not1_saveexec_b32 s18, s18
	s_cbranch_execz .LBB12_542
; %bb.541:                              ;   in Loop: Header=BB12_77 Depth=1
	global_wb scope:SCOPE_DEV
	s_wait_storecnt 0x0
	s_wait_loadcnt_dscnt 0x0
	global_inv scope:SCOPE_DEV
	s_barrier_signal -1
	s_barrier_wait -1
.LBB12_542:                             ;   in Loop: Header=BB12_77 Depth=1
	s_or_b32 exec_lo, exec_lo, s18
	s_delay_alu instid0(SALU_CYCLE_1) | instskip(SKIP_1) | instid1(SALU_CYCLE_1)
	s_or_b32 exec_lo, exec_lo, s16
                                        ; implicit-def: $vgpr11
	s_and_saveexec_b32 s16, s12
	s_xor_b32 s18, exec_lo, s16
	s_cbranch_execnz .LBB12_491
.LBB12_543:                             ;   in Loop: Header=BB12_77 Depth=1
	s_and_not1_saveexec_b32 s16, s18
	s_cbranch_execz .LBB12_611
.LBB12_544:                             ;   in Loop: Header=BB12_77 Depth=1
	s_and_saveexec_b32 s18, s4
	s_delay_alu instid0(SALU_CYCLE_1)
	s_xor_b32 s18, exec_lo, s18
	s_cbranch_execz .LBB12_608
; %bb.545:                              ;   in Loop: Header=BB12_77 Depth=1
	s_and_saveexec_b32 s19, s7
	s_cbranch_execz .LBB12_607
; %bb.546:                              ;   in Loop: Header=BB12_77 Depth=1
	s_mov_b32 s21, exec_lo
	s_mov_b32 s20, exec_lo
	v_mbcnt_lo_u32_b32 v10, s21, 0
	;;#ASMSTART
	s_waitcnt lgkmcnt(0) vmcnt(0)
	;;#ASMEND
	s_delay_alu instid0(VALU_DEP_1)
	v_cmpx_eq_u32_e32 0, v10
	s_cbranch_execz .LBB12_548
; %bb.547:                              ;   in Loop: Header=BB12_77 Depth=1
	s_bcnt1_i32_b32 s21, s21
	s_delay_alu instid0(SALU_CYCLE_1)
	v_mov_b32_e32 v34, s21
	s_wait_storecnt 0x0
	s_wait_loadcnt_dscnt 0x0
	ds_add_u64 v0, v[34:35]
	s_trap 2
.LBB12_548:                             ;   in Loop: Header=BB12_77 Depth=1
	s_or_b32 exec_lo, exec_lo, s20
	s_trap 2
	ds_load_b64 v[10:11], v0
	s_wait_dscnt 0x0
	v_add_nc_u64_e32 v[26:27], v[26:27], v[36:37]
	s_mov_b32 s20, exec_lo
	s_delay_alu instid0(VALU_DEP_1)
	v_cmpx_lt_u64_e64 v[10:11], v[26:27]
	s_cbranch_execz .LBB12_606
; %bb.549:                              ;   in Loop: Header=BB12_77 Depth=1
	s_mov_b32 s21, 0
	s_mov_b32 s45, 0
                                        ; implicit-def: $sgpr43
                                        ; implicit-def: $sgpr44
	s_branch .LBB12_551
.LBB12_550:                             ;   in Loop: Header=BB12_551 Depth=2
	s_or_b32 exec_lo, exec_lo, s47
	s_delay_alu instid0(SALU_CYCLE_1) | instskip(NEXT) | instid1(SALU_CYCLE_1)
	s_and_b32 s46, exec_lo, s56
	s_or_b32 s21, s46, s21
	s_and_not1_b32 s43, s43, exec_lo
	s_and_b32 s46, s44, exec_lo
	s_delay_alu instid0(SALU_CYCLE_1)
	s_or_b32 s43, s43, s46
	s_and_not1_b32 exec_lo, exec_lo, s21
	s_cbranch_execz .LBB12_604
.LBB12_551:                             ;   Parent Loop BB12_77 Depth=1
                                        ; =>  This Inner Loop Header: Depth=2
	s_add_co_i32 s45, s45, 1
	s_delay_alu instid0(SALU_CYCLE_1) | instskip(SKIP_1) | instid1(SALU_CYCLE_1)
	s_cmp_lg_u32 s45, 0x2710
	s_cselect_b32 s46, -1, 0
	s_and_b32 vcc_lo, exec_lo, s46
	s_cbranch_vccz .LBB12_553
; %bb.552:                              ;   in Loop: Header=BB12_551 Depth=2
	s_mov_b32 s56, -1
	s_or_b32 s44, s44, exec_lo
	s_and_saveexec_b32 s47, s46
	s_cbranch_execz .LBB12_550
	s_branch .LBB12_554
.LBB12_553:                             ;   in Loop: Header=BB12_551 Depth=2
	s_trap 2
	ds_load_b64 v[10:11], v0
	s_and_not1_b32 s46, s46, exec_lo
	s_mov_b32 s45, 0
	s_wait_storecnt 0x0
	s_wait_loadcnt_dscnt 0x0
	flat_load_b32 v10, v[10:11] scope:SCOPE_SYS
	s_wait_loadcnt_dscnt 0x0
	global_inv scope:SCOPE_SYS
	v_cmp_eq_u32_e32 vcc_lo, 0, v10
	s_and_b32 s47, vcc_lo, exec_lo
	s_delay_alu instid0(SALU_CYCLE_1)
	s_or_b32 s46, s46, s47
	s_mov_b32 s56, -1
	s_or_b32 s44, s44, exec_lo
	s_and_saveexec_b32 s47, s46
	s_cbranch_execz .LBB12_550
.LBB12_554:                             ;   in Loop: Header=BB12_551 Depth=2
	s_sleep 1
	s_trap 2
	ds_load_b64 v[10:11], v0
	s_wait_dscnt 0x0
	s_and_not1_b32 s44, s44, exec_lo
	v_cmp_ge_u64_e32 vcc_lo, v[10:11], v[26:27]
	s_or_not1_b32 s56, vcc_lo, exec_lo
	s_branch .LBB12_550
.LBB12_555:                             ;   in Loop: Header=BB12_77 Depth=1
	s_or_b32 exec_lo, exec_lo, s21
	s_and_saveexec_b32 s21, s42
	s_delay_alu instid0(SALU_CYCLE_1)
	s_xor_b32 s21, exec_lo, s21
	s_cbranch_execz .LBB12_557
; %bb.556:                              ;   in Loop: Header=BB12_77 Depth=1
	ds_store_b32 v0, v118
	s_trap 2
.LBB12_557:                             ;   in Loop: Header=BB12_77 Depth=1
	s_or_b32 exec_lo, exec_lo, s20
	;;#ASMSTART
	s_wakeup
	;;#ASMEND
.LBB12_558:                             ;   in Loop: Header=BB12_77 Depth=1
	s_or_b32 exec_lo, exec_lo, s19
.LBB12_559:                             ;   in Loop: Header=BB12_77 Depth=1
	s_and_not1_saveexec_b32 s18, s18
	s_cbranch_execz .LBB12_561
; %bb.560:                              ;   in Loop: Header=BB12_77 Depth=1
	;;#ASMSTART
	s_waitcnt lgkmcnt(0) vmcnt(0)
	;;#ASMEND
	s_barrier_signal -1
	s_barrier_wait -1
.LBB12_561:                             ;   in Loop: Header=BB12_77 Depth=1
	s_or_b32 exec_lo, exec_lo, s18
	v_and_b32_e32 v11, 16, v116
.LBB12_562:                             ;   in Loop: Header=BB12_77 Depth=1
	s_or_b32 exec_lo, exec_lo, s16
	s_delay_alu instid0(VALU_DEP_1) | instskip(SKIP_1) | instid1(SALU_CYCLE_1)
	v_cmp_ne_u32_e32 vcc_lo, 0, v11
	s_xor_b32 s16, s5, -1
	s_and_b32 s18, vcc_lo, s16
	s_delay_alu instid0(SALU_CYCLE_1)
	s_and_saveexec_b32 s16, s18
	s_cbranch_execz .LBB12_564
; %bb.563:                              ;   in Loop: Header=BB12_77 Depth=1
	global_wb scope:SCOPE_SYS
	s_wait_storecnt 0x0
	s_wait_loadcnt_dscnt 0x0
	flat_store_b32 v[28:29], v118 scope:SCOPE_SYS
.LBB12_564:                             ;   in Loop: Header=BB12_77 Depth=1
	s_wait_xcnt 0x0
	s_or_b32 exec_lo, exec_lo, s16
	v_and_b32_e32 v10, 48, v116
	s_delay_alu instid0(VALU_DEP_1)
	v_cmp_ne_u32_e32 vcc_lo, 0, v10
	s_and_b32 s16, vcc_lo, exec_lo
.LBB12_565:                             ;   in Loop: Header=BB12_77 Depth=1
	s_or_b32 exec_lo, exec_lo, s17
	s_delay_alu instid0(SALU_CYCLE_1)
	s_and_b32 s17, s16, exec_lo
                                        ; implicit-def: $vgpr86
                                        ; implicit-def: $vgpr43
                                        ; implicit-def: $vgpr10_vgpr11
.LBB12_566:                             ;   in Loop: Header=BB12_77 Depth=1
	s_and_not1_saveexec_b32 s18, s40
	s_cbranch_execz .LBB12_996
; %bb.567:                              ;   in Loop: Header=BB12_77 Depth=1
	v_mov_b32_e32 v87, 0
	s_and_saveexec_b32 s19, s15
	s_cbranch_execz .LBB12_845
; %bb.568:                              ;   in Loop: Header=BB12_77 Depth=1
	s_and_saveexec_b32 s16, s0
	s_cbranch_execz .LBB12_570
; %bb.569:                              ;   in Loop: Header=BB12_77 Depth=1
	s_trap 2
	ds_load_b128 v[96:99], v0
	s_wait_dscnt 0x0
	v_add_nc_u64_e32 v[12:13], v[98:99], v[10:11]
	v_cmp_ne_u64_e32 vcc_lo, 0, v[98:99]
	v_add_nc_u64_e32 v[10:11], v[96:97], v[10:11]
	s_delay_alu instid0(VALU_DEP_3)
	v_dual_cndmask_b32 v13, 0, v13 :: v_dual_cndmask_b32 v12, 0, v12
	ds_store_b64 v0, v[10:11]
	ds_store_b64 v0, v[12:13]
.LBB12_570:                             ;   in Loop: Header=BB12_77 Depth=1
	s_or_b32 exec_lo, exec_lo, s16
	v_and_b32_e32 v10, 4, v116
	s_mov_b32 s20, exec_lo
	s_delay_alu instid0(VALU_DEP_1)
	v_cmpx_ne_u32_e32 0, v10
	s_cbranch_execz .LBB12_592
; %bb.571:                              ;   in Loop: Header=BB12_77 Depth=1
	v_add_nc_u64_e32 v[10:11], 1, v[8:9]
	s_mov_b32 s21, exec_lo
	s_wait_loadcnt_dscnt 0x1
	s_delay_alu instid0(VALU_DEP_1)
	v_cmpx_lt_u64_e64 v[32:33], v[10:11]
	s_cbranch_execz .LBB12_583
; %bb.572:                              ;   in Loop: Header=BB12_77 Depth=1
	v_and_b32_e32 v9, 64, v116
	s_mov_b32 s40, 0
	s_mov_b32 s45, 0
                                        ; implicit-def: $sgpr42
                                        ; implicit-def: $sgpr43
                                        ; implicit-def: $sgpr44
	s_delay_alu instid0(VALU_DEP_1)
	v_cmp_eq_u32_e32 vcc_lo, 0, v9
	s_branch .LBB12_576
.LBB12_573:                             ;   in Loop: Header=BB12_576 Depth=2
	s_wait_loadcnt_dscnt 0x0
	v_cmp_ge_u64_e64 s16, v[32:33], v[10:11]
	s_or_b32 s56, s56, exec_lo
	s_or_not1_b32 s47, s16, exec_lo
.LBB12_574:                             ;   in Loop: Header=BB12_576 Depth=2
	s_or_b32 exec_lo, exec_lo, s58
	s_delay_alu instid0(SALU_CYCLE_1)
	s_and_not1_b32 s16, s44, exec_lo
	s_and_b32 s44, s56, exec_lo
	s_and_not1_b32 s43, s43, exec_lo
	s_and_b32 s47, s47, exec_lo
	s_or_b32 s44, s16, s44
	s_or_b32 s43, s43, s47
.LBB12_575:                             ;   in Loop: Header=BB12_576 Depth=2
	s_or_b32 exec_lo, exec_lo, s46
	s_delay_alu instid0(SALU_CYCLE_1) | instskip(NEXT) | instid1(SALU_CYCLE_1)
	s_and_b32 s16, exec_lo, s43
	s_or_b32 s40, s16, s40
	s_and_not1_b32 s16, s42, exec_lo
	s_and_b32 s42, s44, exec_lo
	s_delay_alu instid0(SALU_CYCLE_1)
	s_or_b32 s42, s16, s42
	s_and_not1_b32 exec_lo, exec_lo, s40
	s_cbranch_execz .LBB12_580
.LBB12_576:                             ;   Parent Loop BB12_77 Depth=1
                                        ; =>  This Inner Loop Header: Depth=2
	s_sleep 1
	s_wait_loadcnt_dscnt 0x0
	flat_load_b64 v[32:33], v[20:21] scope:SCOPE_SYS
	s_or_b32 s44, s44, exec_lo
	s_or_b32 s43, s43, exec_lo
                                        ; implicit-def: $vgpr9
	s_wait_xcnt 0x0
	s_and_saveexec_b32 s46, vcc_lo
	s_cbranch_execz .LBB12_575
; %bb.577:                              ;   in Loop: Header=BB12_576 Depth=2
	s_cmp_lt_i32 s45, 0x270f
	s_mov_b32 s47, -1
	s_cselect_b32 s57, -1, 0
	s_cmp_gt_i32 s45, 0x270e
	s_cbranch_scc0 .LBB12_579
; %bb.578:                              ;   in Loop: Header=BB12_576 Depth=2
	s_trap 2
	ds_load_b64 v[12:13], v0
	s_and_not1_b32 s45, s57, exec_lo
	s_mov_b32 s56, 0
	s_wait_storecnt 0x0
	s_wait_loadcnt_dscnt 0x0
	flat_load_b32 v9, v[12:13] scope:SCOPE_SYS
	s_wait_loadcnt_dscnt 0x0
	global_inv scope:SCOPE_SYS
	v_cmp_eq_u32_e64 s16, 0, v9
	s_and_b32 s16, s16, exec_lo
	s_delay_alu instid0(SALU_CYCLE_1)
	s_or_b32 s57, s45, s16
	s_mov_b32 s45, 0
	s_and_saveexec_b32 s58, s57
	s_cbranch_execz .LBB12_574
	s_branch .LBB12_573
.LBB12_579:                             ;   in Loop: Header=BB12_576 Depth=2
	s_add_co_i32 s45, s45, 1
	s_mov_b32 s56, -1
                                        ; implicit-def: $vgpr9
	s_and_saveexec_b32 s58, s57
	s_cbranch_execz .LBB12_574
	s_branch .LBB12_573
.LBB12_580:                             ;   in Loop: Header=BB12_77 Depth=1
	s_or_b32 exec_lo, exec_lo, s40
	s_xor_b32 s16, s42, -1
	s_delay_alu instid0(SALU_CYCLE_1) | instskip(NEXT) | instid1(SALU_CYCLE_1)
	s_and_saveexec_b32 s40, s16
	s_xor_b32 s16, exec_lo, s40
	s_cbranch_execz .LBB12_582
; %bb.581:                              ;   in Loop: Header=BB12_77 Depth=1
	v_or_b32_e32 v116, 64, v116
	s_wait_storecnt 0x0
	s_wait_loadcnt_dscnt 0x0
	ds_store_b32 v0, v9
	s_trap 2
.LBB12_582:                             ;   in Loop: Header=BB12_77 Depth=1
	s_or_b32 exec_lo, exec_lo, s16
.LBB12_583:                             ;   in Loop: Header=BB12_77 Depth=1
	s_delay_alu instid0(SALU_CYCLE_1) | instskip(SKIP_4) | instid1(VALU_DEP_2)
	s_or_b32 exec_lo, exec_lo, s21
	v_and_b32_e32 v9, 0x100, v116
	v_and_b32_e32 v34, 7, v8
	s_mov_b32 s16, -1
	;;#ASMSTART
	s_wakeup
	;;#ASMEND
	v_cmp_ne_u32_e32 vcc_lo, 0, v9
                                        ; implicit-def: $vgpr8_vgpr9
	s_and_saveexec_b32 s21, vcc_lo
	s_cbranch_execz .LBB12_587
; %bb.584:                              ;   in Loop: Header=BB12_77 Depth=1
	v_mad_nc_u64_u32 v[12:13], v34, 24, v[6:7]
	flat_load_b32 v8, v[12:13]
	s_wait_loadcnt_dscnt 0x0
	v_cmp_eq_u32_e64 s16, 1, v8
	v_cmp_ne_u32_e32 vcc_lo, 1, v8
                                        ; implicit-def: $vgpr8_vgpr9
	s_wait_xcnt 0x0
	s_and_saveexec_b32 s40, s16
	s_cbranch_execz .LBB12_586
; %bb.585:                              ;   in Loop: Header=BB12_77 Depth=1
	flat_load_b32 v8, v[12:13] offset:4 scope:SCOPE_SYS
	s_wait_loadcnt_dscnt 0x0
	v_ashrrev_i32_e32 v9, 31, v8
.LBB12_586:                             ;   in Loop: Header=BB12_77 Depth=1
	s_wait_xcnt 0x0
	s_or_b32 exec_lo, exec_lo, s40
	s_delay_alu instid0(SALU_CYCLE_1)
	s_or_not1_b32 s16, vcc_lo, exec_lo
.LBB12_587:                             ;   in Loop: Header=BB12_77 Depth=1
	s_or_b32 exec_lo, exec_lo, s21
	s_and_saveexec_b32 s21, s16
; %bb.588:                              ;   in Loop: Header=BB12_77 Depth=1
	v_mul_u64_e32 v[8:9], v[34:35], v[22:23]
; %bb.589:                              ;   in Loop: Header=BB12_77 Depth=1
	s_or_b32 exec_lo, exec_lo, s21
	s_delay_alu instid0(VALU_DEP_1)
	v_add_nc_u64_e32 v[8:9], v[24:25], v[8:9]
	v_and_b32_e32 v12, 0x2000, v116
	s_mov_b32 s16, exec_lo
	ds_store_b64 v0, v[8:9] offset:720
	v_cmpx_ne_u32_e32 0, v12
	s_cbranch_execz .LBB12_591
; %bb.590:                              ;   in Loop: Header=BB12_77 Depth=1
	ds_load_b64 v[8:9], v0 offset:872
	s_wait_dscnt 0x0
	v_add_nc_u64_e32 v[8:9], 1, v[8:9]
	ds_store_b64 v0, v[8:9] offset:872
.LBB12_591:                             ;   in Loop: Header=BB12_77 Depth=1
	s_or_b32 exec_lo, exec_lo, s16
	v_mov_b64_e32 v[8:9], v[10:11]
.LBB12_592:                             ;   in Loop: Header=BB12_77 Depth=1
	s_or_b32 exec_lo, exec_lo, s20
	s_and_saveexec_b32 s16, s3
	s_cbranch_execz .LBB12_660
; %bb.593:                              ;   in Loop: Header=BB12_77 Depth=1
	s_and_saveexec_b32 s20, s4
	s_delay_alu instid0(SALU_CYCLE_1)
	s_xor_b32 s20, exec_lo, s20
	s_cbranch_execz .LBB12_657
; %bb.594:                              ;   in Loop: Header=BB12_77 Depth=1
	s_and_saveexec_b32 s21, s7
	s_cbranch_execz .LBB12_656
; %bb.595:                              ;   in Loop: Header=BB12_77 Depth=1
	s_mov_b32 s42, exec_lo
	s_mov_b32 s40, exec_lo
	v_mbcnt_lo_u32_b32 v10, s42, 0
	global_wb scope:SCOPE_DEV
	s_wait_storecnt 0x0
	s_wait_loadcnt_dscnt 0x0
	global_inv scope:SCOPE_DEV
	v_cmpx_eq_u32_e32 0, v10
	s_cbranch_execz .LBB12_597
; %bb.596:                              ;   in Loop: Header=BB12_77 Depth=1
	s_bcnt1_i32_b32 s42, s42
	s_delay_alu instid0(SALU_CYCLE_1)
	v_mov_b32_e32 v34, s42
	s_wait_loadcnt 0x0
	ds_add_u64 v0, v[34:35]
	s_trap 2
.LBB12_597:                             ;   in Loop: Header=BB12_77 Depth=1
	s_or_b32 exec_lo, exec_lo, s40
	s_trap 2
	ds_load_b64 v[10:11], v0
	s_wait_dscnt 0x0
	v_add_nc_u64_e32 v[26:27], v[26:27], v[36:37]
	s_mov_b32 s40, exec_lo
	s_delay_alu instid0(VALU_DEP_1)
	v_cmpx_lt_u64_e64 v[10:11], v[26:27]
	s_cbranch_execz .LBB12_655
; %bb.598:                              ;   in Loop: Header=BB12_77 Depth=1
	s_mov_b32 s42, 0
	s_mov_b32 s45, 0
                                        ; implicit-def: $sgpr43
                                        ; implicit-def: $sgpr44
	s_branch .LBB12_600
.LBB12_599:                             ;   in Loop: Header=BB12_600 Depth=2
	s_or_b32 exec_lo, exec_lo, s47
	s_delay_alu instid0(SALU_CYCLE_1) | instskip(NEXT) | instid1(SALU_CYCLE_1)
	s_and_b32 s46, exec_lo, s56
	s_or_b32 s42, s46, s42
	s_and_not1_b32 s43, s43, exec_lo
	s_and_b32 s46, s44, exec_lo
	s_delay_alu instid0(SALU_CYCLE_1)
	s_or_b32 s43, s43, s46
	s_and_not1_b32 exec_lo, exec_lo, s42
	s_cbranch_execz .LBB12_653
.LBB12_600:                             ;   Parent Loop BB12_77 Depth=1
                                        ; =>  This Inner Loop Header: Depth=2
	s_add_co_i32 s45, s45, 1
	s_delay_alu instid0(SALU_CYCLE_1) | instskip(SKIP_1) | instid1(SALU_CYCLE_1)
	s_cmp_lg_u32 s45, 0x2710
	s_cselect_b32 s46, -1, 0
	s_and_b32 vcc_lo, exec_lo, s46
	s_cbranch_vccz .LBB12_602
; %bb.601:                              ;   in Loop: Header=BB12_600 Depth=2
	s_mov_b32 s56, -1
	s_or_b32 s44, s44, exec_lo
	s_and_saveexec_b32 s47, s46
	s_cbranch_execz .LBB12_599
	s_branch .LBB12_603
.LBB12_602:                             ;   in Loop: Header=BB12_600 Depth=2
	s_trap 2
	ds_load_b64 v[10:11], v0
	s_and_not1_b32 s46, s46, exec_lo
	s_mov_b32 s45, 0
	s_wait_loadcnt_dscnt 0x0
	flat_load_b32 v10, v[10:11] scope:SCOPE_SYS
	s_wait_loadcnt_dscnt 0x0
	global_inv scope:SCOPE_SYS
	v_cmp_eq_u32_e32 vcc_lo, 0, v10
	s_and_b32 s47, vcc_lo, exec_lo
	s_delay_alu instid0(SALU_CYCLE_1)
	s_or_b32 s46, s46, s47
	s_mov_b32 s56, -1
	s_or_b32 s44, s44, exec_lo
	s_and_saveexec_b32 s47, s46
	s_cbranch_execz .LBB12_599
.LBB12_603:                             ;   in Loop: Header=BB12_600 Depth=2
	s_sleep 1
	s_trap 2
	ds_load_b64 v[10:11], v0
	s_wait_dscnt 0x0
	s_and_not1_b32 s44, s44, exec_lo
	v_cmp_ge_u64_e32 vcc_lo, v[10:11], v[26:27]
	s_or_not1_b32 s56, vcc_lo, exec_lo
	s_branch .LBB12_599
.LBB12_604:                             ;   in Loop: Header=BB12_77 Depth=1
	s_or_b32 exec_lo, exec_lo, s21
	s_and_saveexec_b32 s21, s43
	s_delay_alu instid0(SALU_CYCLE_1)
	s_xor_b32 s21, exec_lo, s21
	s_cbranch_execz .LBB12_606
; %bb.605:                              ;   in Loop: Header=BB12_77 Depth=1
	ds_store_b32 v0, v118
	s_trap 2
.LBB12_606:                             ;   in Loop: Header=BB12_77 Depth=1
	s_or_b32 exec_lo, exec_lo, s20
	;;#ASMSTART
	s_wakeup
	;;#ASMEND
.LBB12_607:                             ;   in Loop: Header=BB12_77 Depth=1
	s_or_b32 exec_lo, exec_lo, s19
.LBB12_608:                             ;   in Loop: Header=BB12_77 Depth=1
	s_and_not1_saveexec_b32 s18, s18
	s_cbranch_execz .LBB12_610
; %bb.609:                              ;   in Loop: Header=BB12_77 Depth=1
	;;#ASMSTART
	s_waitcnt lgkmcnt(0) vmcnt(0)
	;;#ASMEND
	s_barrier_signal -1
	s_barrier_wait -1
.LBB12_610:                             ;   in Loop: Header=BB12_77 Depth=1
	s_or_b32 exec_lo, exec_lo, s18
	v_and_b32_e32 v11, 16, v116
.LBB12_611:                             ;   in Loop: Header=BB12_77 Depth=1
	s_or_b32 exec_lo, exec_lo, s16
	s_mov_b32 s18, 0
	s_mov_b32 s16, s40
	s_mov_b32 s19, exec_lo
	v_cmpx_ne_u32_e32 0, v11
	s_xor_b32 s19, exec_lo, s19
; %bb.612:                              ;   in Loop: Header=BB12_77 Depth=1
	s_and_not1_b32 s16, s40, exec_lo
	s_and_b32 s18, s5, exec_lo
	s_delay_alu instid0(SALU_CYCLE_1)
	s_or_b32 s16, s16, s18
	s_and_b32 s18, s6, exec_lo
; %bb.613:                              ;   in Loop: Header=BB12_77 Depth=1
	s_or_b32 exec_lo, exec_lo, s19
	s_delay_alu instid0(SALU_CYCLE_1)
	s_and_not1_b32 s19, s40, exec_lo
	s_and_b32 s16, s16, exec_lo
	s_and_b32 s18, s18, exec_lo
	s_or_b32 s16, s19, s16
.LBB12_614:                             ;   in Loop: Header=BB12_77 Depth=1
	s_or_b32 exec_lo, exec_lo, s17
	s_delay_alu instid0(SALU_CYCLE_1) | instskip(SKIP_1) | instid1(SALU_CYCLE_1)
	s_and_not1_b32 s17, s40, exec_lo
	s_and_b32 s16, s16, exec_lo
                                        ; implicit-def: $vgpr86
                                        ; implicit-def: $vgpr43
                                        ; implicit-def: $vgpr10_vgpr11
	s_or_b32 s16, s17, s16
	s_and_b32 s17, s18, exec_lo
.LBB12_615:                             ;   in Loop: Header=BB12_77 Depth=1
	s_and_not1_saveexec_b32 s18, s42
	s_cbranch_execz .LBB12_984
; %bb.616:                              ;   in Loop: Header=BB12_77 Depth=1
	v_mov_b32_e32 v12, 0
	s_and_saveexec_b32 s19, s15
	s_cbranch_execz .LBB12_896
; %bb.617:                              ;   in Loop: Header=BB12_77 Depth=1
	s_and_saveexec_b32 s15, s0
	s_cbranch_execz .LBB12_619
; %bb.618:                              ;   in Loop: Header=BB12_77 Depth=1
	s_trap 2
	ds_load_b64 v[12:13], v0
	s_wait_dscnt 0x0
	v_add_nc_u64_e32 v[10:11], v[12:13], v[10:11]
	ds_store_b64 v0, v[10:11]
	ds_store_b64 v0, v[38:39]
.LBB12_619:                             ;   in Loop: Header=BB12_77 Depth=1
	s_or_b32 exec_lo, exec_lo, s15
	v_and_b32_e32 v10, 8, v116
	v_min_i32_e32 v86, v86, v43
	s_mov_b32 s20, exec_lo
	s_delay_alu instid0(VALU_DEP_2)
	v_cmpx_ne_u32_e32 0, v10
	s_cbranch_execz .LBB12_641
; %bb.620:                              ;   in Loop: Header=BB12_77 Depth=1
	s_wait_loadcnt_dscnt 0x1
	v_add_nc_u64_e32 v[12:13], 8, v[32:33]
	v_add_nc_u64_e32 v[10:11], 1, v[8:9]
	s_mov_b32 s21, exec_lo
	s_delay_alu instid0(VALU_DEP_1)
	v_cmpx_lt_u64_e64 v[12:13], v[10:11]
	s_cbranch_execz .LBB12_632
; %bb.621:                              ;   in Loop: Header=BB12_77 Depth=1
	v_and_b32_e32 v9, 64, v116
	s_mov_b32 s42, 0
	s_mov_b32 s46, 0
                                        ; implicit-def: $sgpr43
                                        ; implicit-def: $sgpr44
                                        ; implicit-def: $sgpr45
	s_delay_alu instid0(VALU_DEP_1)
	v_cmp_eq_u32_e32 vcc_lo, 0, v9
	s_branch .LBB12_625
.LBB12_622:                             ;   in Loop: Header=BB12_625 Depth=2
	s_wait_loadcnt_dscnt 0x0
	v_add_nc_u64_e32 v[12:13], 8, v[32:33]
	s_or_b32 s57, s57, exec_lo
	s_delay_alu instid0(VALU_DEP_1)
	v_cmp_ge_u64_e64 s15, v[12:13], v[10:11]
	s_or_not1_b32 s56, s15, exec_lo
.LBB12_623:                             ;   in Loop: Header=BB12_625 Depth=2
	s_or_b32 exec_lo, exec_lo, s59
	s_delay_alu instid0(SALU_CYCLE_1)
	s_and_not1_b32 s15, s45, exec_lo
	s_and_b32 s45, s57, exec_lo
	s_and_not1_b32 s44, s44, exec_lo
	s_and_b32 s56, s56, exec_lo
	s_or_b32 s45, s15, s45
	s_or_b32 s44, s44, s56
.LBB12_624:                             ;   in Loop: Header=BB12_625 Depth=2
	s_or_b32 exec_lo, exec_lo, s47
	s_delay_alu instid0(SALU_CYCLE_1) | instskip(NEXT) | instid1(SALU_CYCLE_1)
	s_and_b32 s15, exec_lo, s44
	s_or_b32 s42, s15, s42
	s_and_not1_b32 s15, s43, exec_lo
	s_and_b32 s43, s45, exec_lo
	s_delay_alu instid0(SALU_CYCLE_1)
	s_or_b32 s43, s15, s43
	s_and_not1_b32 exec_lo, exec_lo, s42
	s_cbranch_execz .LBB12_629
.LBB12_625:                             ;   Parent Loop BB12_77 Depth=1
                                        ; =>  This Inner Loop Header: Depth=2
	s_sleep 1
	s_wait_loadcnt_dscnt 0x0
	flat_load_b64 v[32:33], v[20:21] scope:SCOPE_SYS
	s_or_b32 s45, s45, exec_lo
	s_or_b32 s44, s44, exec_lo
                                        ; implicit-def: $vgpr9
	s_wait_xcnt 0x0
	s_and_saveexec_b32 s47, vcc_lo
	s_cbranch_execz .LBB12_624
; %bb.626:                              ;   in Loop: Header=BB12_625 Depth=2
	s_cmp_lt_i32 s46, 0x270f
	s_mov_b32 s56, -1
	s_cselect_b32 s58, -1, 0
	s_cmp_gt_i32 s46, 0x270e
	s_cbranch_scc0 .LBB12_628
; %bb.627:                              ;   in Loop: Header=BB12_625 Depth=2
	s_trap 2
	ds_load_b64 v[12:13], v0
	s_and_not1_b32 s46, s58, exec_lo
	s_mov_b32 s57, 0
	s_wait_storecnt 0x0
	s_wait_loadcnt_dscnt 0x0
	flat_load_b32 v9, v[12:13] scope:SCOPE_SYS
	s_wait_loadcnt_dscnt 0x0
	global_inv scope:SCOPE_SYS
	v_cmp_eq_u32_e64 s15, 0, v9
	s_and_b32 s15, s15, exec_lo
	s_delay_alu instid0(SALU_CYCLE_1)
	s_or_b32 s58, s46, s15
	s_mov_b32 s46, 0
	s_and_saveexec_b32 s59, s58
	s_cbranch_execz .LBB12_623
	s_branch .LBB12_622
.LBB12_628:                             ;   in Loop: Header=BB12_625 Depth=2
	s_add_co_i32 s46, s46, 1
	s_mov_b32 s57, -1
                                        ; implicit-def: $vgpr9
	s_and_saveexec_b32 s59, s58
	s_cbranch_execz .LBB12_623
	s_branch .LBB12_622
.LBB12_629:                             ;   in Loop: Header=BB12_77 Depth=1
	s_or_b32 exec_lo, exec_lo, s42
	s_xor_b32 s15, s43, -1
	s_delay_alu instid0(SALU_CYCLE_1) | instskip(NEXT) | instid1(SALU_CYCLE_1)
	s_and_saveexec_b32 s42, s15
	s_xor_b32 s15, exec_lo, s42
	s_cbranch_execz .LBB12_631
; %bb.630:                              ;   in Loop: Header=BB12_77 Depth=1
	v_or_b32_e32 v116, 64, v116
	s_wait_storecnt 0x0
	s_wait_loadcnt_dscnt 0x0
	ds_store_b32 v0, v9
	s_trap 2
.LBB12_631:                             ;   in Loop: Header=BB12_77 Depth=1
	s_or_b32 exec_lo, exec_lo, s15
.LBB12_632:                             ;   in Loop: Header=BB12_77 Depth=1
	s_delay_alu instid0(SALU_CYCLE_1) | instskip(SKIP_4) | instid1(VALU_DEP_2)
	s_or_b32 exec_lo, exec_lo, s21
	v_and_b32_e32 v9, 0x100, v116
	v_and_b32_e32 v34, 7, v8
	s_mov_b32 s15, -1
	;;#ASMSTART
	s_wakeup
	;;#ASMEND
	v_cmp_ne_u32_e32 vcc_lo, 0, v9
                                        ; implicit-def: $vgpr8_vgpr9
	s_and_saveexec_b32 s21, vcc_lo
	s_cbranch_execz .LBB12_636
; %bb.633:                              ;   in Loop: Header=BB12_77 Depth=1
	v_mad_nc_u64_u32 v[12:13], v34, 24, v[6:7]
	v_ashrrev_i32_e32 v87, 31, v86
	s_clause 0x1
	flat_load_b32 v8, v[12:13]
	flat_store_b64 v[12:13], v[86:87] offset:8
	s_wait_loadcnt_dscnt 0x1
	v_cmp_eq_u32_e64 s15, 1, v8
	v_cmp_ne_u32_e32 vcc_lo, 1, v8
                                        ; implicit-def: $vgpr8_vgpr9
	s_wait_xcnt 0x0
	s_and_saveexec_b32 s42, s15
	s_cbranch_execz .LBB12_635
; %bb.634:                              ;   in Loop: Header=BB12_77 Depth=1
	flat_load_b32 v8, v[12:13] offset:4 scope:SCOPE_SYS
	s_wait_loadcnt_dscnt 0x0
	v_ashrrev_i32_e32 v9, 31, v8
.LBB12_635:                             ;   in Loop: Header=BB12_77 Depth=1
	s_wait_xcnt 0x0
	s_or_b32 exec_lo, exec_lo, s42
	s_delay_alu instid0(SALU_CYCLE_1)
	s_or_not1_b32 s15, vcc_lo, exec_lo
.LBB12_636:                             ;   in Loop: Header=BB12_77 Depth=1
	s_or_b32 exec_lo, exec_lo, s21
	s_and_saveexec_b32 s21, s15
; %bb.637:                              ;   in Loop: Header=BB12_77 Depth=1
	v_mul_u64_e32 v[8:9], v[34:35], v[22:23]
; %bb.638:                              ;   in Loop: Header=BB12_77 Depth=1
	s_or_b32 exec_lo, exec_lo, s21
	s_delay_alu instid0(VALU_DEP_1)
	v_add_nc_u64_e32 v[8:9], v[24:25], v[8:9]
	v_and_b32_e32 v12, 0x2000, v116
	s_mov_b32 s15, exec_lo
	ds_store_b64 v0, v[8:9] offset:784
	v_cmpx_ne_u32_e32 0, v12
	s_cbranch_execz .LBB12_640
; %bb.639:                              ;   in Loop: Header=BB12_77 Depth=1
	ds_load_b64 v[8:9], v0 offset:872
	s_wait_dscnt 0x0
	v_add_nc_u64_e32 v[8:9], 1, v[8:9]
	ds_store_b64 v0, v[8:9] offset:872
.LBB12_640:                             ;   in Loop: Header=BB12_77 Depth=1
	s_or_b32 exec_lo, exec_lo, s15
	v_mov_b64_e32 v[8:9], v[10:11]
.LBB12_641:                             ;   in Loop: Header=BB12_77 Depth=1
	s_or_b32 exec_lo, exec_lo, s20
	s_and_saveexec_b32 s15, s3
	s_cbranch_execz .LBB12_679
; %bb.642:                              ;   in Loop: Header=BB12_77 Depth=1
	s_and_saveexec_b32 s20, s4
	s_delay_alu instid0(SALU_CYCLE_1)
	s_xor_b32 s20, exec_lo, s20
	s_cbranch_execz .LBB12_676
; %bb.643:                              ;   in Loop: Header=BB12_77 Depth=1
	s_and_saveexec_b32 s21, s7
	s_cbranch_execz .LBB12_675
; %bb.644:                              ;   in Loop: Header=BB12_77 Depth=1
	s_mov_b32 s43, exec_lo
	s_mov_b32 s42, exec_lo
	v_mbcnt_lo_u32_b32 v10, s43, 0
	global_wb scope:SCOPE_DEV
	s_wait_storecnt 0x0
	s_wait_loadcnt_dscnt 0x0
	global_inv scope:SCOPE_DEV
	v_cmpx_eq_u32_e32 0, v10
	s_cbranch_execz .LBB12_646
; %bb.645:                              ;   in Loop: Header=BB12_77 Depth=1
	s_bcnt1_i32_b32 s43, s43
	s_delay_alu instid0(SALU_CYCLE_1)
	v_mov_b32_e32 v34, s43
	s_wait_loadcnt 0x0
	ds_add_u64 v0, v[34:35]
	s_trap 2
.LBB12_646:                             ;   in Loop: Header=BB12_77 Depth=1
	s_or_b32 exec_lo, exec_lo, s42
	s_trap 2
	ds_load_b64 v[10:11], v0
	s_wait_dscnt 0x0
	v_add_nc_u64_e32 v[26:27], v[26:27], v[36:37]
	s_mov_b32 s42, exec_lo
	s_delay_alu instid0(VALU_DEP_1)
	v_cmpx_lt_u64_e64 v[10:11], v[26:27]
	s_cbranch_execz .LBB12_674
; %bb.647:                              ;   in Loop: Header=BB12_77 Depth=1
	s_mov_b32 s43, 0
	s_mov_b32 s46, 0
                                        ; implicit-def: $sgpr44
                                        ; implicit-def: $sgpr45
	s_branch .LBB12_649
.LBB12_648:                             ;   in Loop: Header=BB12_649 Depth=2
	s_or_b32 exec_lo, exec_lo, s56
	s_delay_alu instid0(SALU_CYCLE_1) | instskip(NEXT) | instid1(SALU_CYCLE_1)
	s_and_b32 s47, exec_lo, s57
	s_or_b32 s43, s47, s43
	s_and_not1_b32 s44, s44, exec_lo
	s_and_b32 s47, s45, exec_lo
	s_delay_alu instid0(SALU_CYCLE_1)
	s_or_b32 s44, s44, s47
	s_and_not1_b32 exec_lo, exec_lo, s43
	s_cbranch_execz .LBB12_672
.LBB12_649:                             ;   Parent Loop BB12_77 Depth=1
                                        ; =>  This Inner Loop Header: Depth=2
	s_add_co_i32 s46, s46, 1
	s_delay_alu instid0(SALU_CYCLE_1) | instskip(SKIP_1) | instid1(SALU_CYCLE_1)
	s_cmp_lg_u32 s46, 0x2710
	s_cselect_b32 s47, -1, 0
	s_and_b32 vcc_lo, exec_lo, s47
	s_cbranch_vccz .LBB12_651
; %bb.650:                              ;   in Loop: Header=BB12_649 Depth=2
	s_mov_b32 s57, -1
	s_or_b32 s45, s45, exec_lo
	s_and_saveexec_b32 s56, s47
	s_cbranch_execz .LBB12_648
	s_branch .LBB12_652
.LBB12_651:                             ;   in Loop: Header=BB12_649 Depth=2
	s_trap 2
	ds_load_b64 v[10:11], v0
	s_and_not1_b32 s47, s47, exec_lo
	s_mov_b32 s46, 0
	s_wait_loadcnt_dscnt 0x0
	flat_load_b32 v10, v[10:11] scope:SCOPE_SYS
	s_wait_loadcnt_dscnt 0x0
	global_inv scope:SCOPE_SYS
	v_cmp_eq_u32_e32 vcc_lo, 0, v10
	s_and_b32 s56, vcc_lo, exec_lo
	s_delay_alu instid0(SALU_CYCLE_1)
	s_or_b32 s47, s47, s56
	s_mov_b32 s57, -1
	s_or_b32 s45, s45, exec_lo
	s_and_saveexec_b32 s56, s47
	s_cbranch_execz .LBB12_648
.LBB12_652:                             ;   in Loop: Header=BB12_649 Depth=2
	s_sleep 1
	s_trap 2
	ds_load_b64 v[10:11], v0
	s_wait_dscnt 0x0
	s_and_not1_b32 s45, s45, exec_lo
	v_cmp_ge_u64_e32 vcc_lo, v[10:11], v[26:27]
	s_or_not1_b32 s57, vcc_lo, exec_lo
	s_branch .LBB12_648
.LBB12_653:                             ;   in Loop: Header=BB12_77 Depth=1
	s_or_b32 exec_lo, exec_lo, s42
	s_and_saveexec_b32 s42, s43
	s_delay_alu instid0(SALU_CYCLE_1)
	s_xor_b32 s42, exec_lo, s42
	s_cbranch_execz .LBB12_655
; %bb.654:                              ;   in Loop: Header=BB12_77 Depth=1
	ds_store_b32 v0, v118
	s_trap 2
.LBB12_655:                             ;   in Loop: Header=BB12_77 Depth=1
	s_or_b32 exec_lo, exec_lo, s40
	;;#ASMSTART
	s_wakeup
	;;#ASMEND
.LBB12_656:                             ;   in Loop: Header=BB12_77 Depth=1
	s_or_b32 exec_lo, exec_lo, s21
.LBB12_657:                             ;   in Loop: Header=BB12_77 Depth=1
	s_and_not1_saveexec_b32 s20, s20
	s_cbranch_execz .LBB12_659
; %bb.658:                              ;   in Loop: Header=BB12_77 Depth=1
	global_wb scope:SCOPE_DEV
	s_wait_storecnt 0x0
	s_wait_loadcnt_dscnt 0x0
	global_inv scope:SCOPE_DEV
	s_barrier_signal -1
	s_barrier_wait -1
.LBB12_659:                             ;   in Loop: Header=BB12_77 Depth=1
	s_or_b32 exec_lo, exec_lo, s20
.LBB12_660:                             ;   in Loop: Header=BB12_77 Depth=1
	s_delay_alu instid0(SALU_CYCLE_1) | instskip(SKIP_3) | instid1(VALU_DEP_1)
	s_or_b32 exec_lo, exec_lo, s16
	s_trap 2
	ds_load_b32 v87, v0
	v_and_b32_e32 v10, 0x4000, v116
	v_cmp_ne_u32_e32 vcc_lo, 0, v10
	s_and_b32 s20, s29, vcc_lo
	s_delay_alu instid0(SALU_CYCLE_1)
	s_and_saveexec_b32 s16, s20
	s_cbranch_execz .LBB12_698
; %bb.661:                              ;   in Loop: Header=BB12_77 Depth=1
	s_and_saveexec_b32 s20, s4
	s_delay_alu instid0(SALU_CYCLE_1)
	s_xor_b32 s20, exec_lo, s20
	s_cbranch_execz .LBB12_695
; %bb.662:                              ;   in Loop: Header=BB12_77 Depth=1
	s_and_saveexec_b32 s21, s7
	s_cbranch_execz .LBB12_694
; %bb.663:                              ;   in Loop: Header=BB12_77 Depth=1
	s_mov_b32 s42, exec_lo
	s_mov_b32 s40, exec_lo
	v_mbcnt_lo_u32_b32 v10, s42, 0
	global_wb scope:SCOPE_DEV
	s_wait_storecnt 0x0
	s_wait_loadcnt_dscnt 0x0
	global_inv scope:SCOPE_DEV
	v_cmpx_eq_u32_e32 0, v10
	s_cbranch_execz .LBB12_665
; %bb.664:                              ;   in Loop: Header=BB12_77 Depth=1
	s_bcnt1_i32_b32 s42, s42
	s_delay_alu instid0(SALU_CYCLE_1)
	v_mov_b32_e32 v34, s42
	s_wait_loadcnt 0x0
	ds_add_u64 v0, v[34:35]
	s_trap 2
.LBB12_665:                             ;   in Loop: Header=BB12_77 Depth=1
	s_or_b32 exec_lo, exec_lo, s40
	s_trap 2
	ds_load_b64 v[10:11], v0
	s_wait_dscnt 0x0
	v_add_nc_u64_e32 v[26:27], v[26:27], v[36:37]
	s_mov_b32 s40, exec_lo
	s_delay_alu instid0(VALU_DEP_1)
	v_cmpx_lt_u64_e64 v[10:11], v[26:27]
	s_cbranch_execz .LBB12_693
; %bb.666:                              ;   in Loop: Header=BB12_77 Depth=1
	s_mov_b32 s42, 0
	s_mov_b32 s45, 0
                                        ; implicit-def: $sgpr43
                                        ; implicit-def: $sgpr44
	s_branch .LBB12_668
.LBB12_667:                             ;   in Loop: Header=BB12_668 Depth=2
	s_or_b32 exec_lo, exec_lo, s47
	s_delay_alu instid0(SALU_CYCLE_1) | instskip(NEXT) | instid1(SALU_CYCLE_1)
	s_and_b32 s46, exec_lo, s56
	s_or_b32 s42, s46, s42
	s_and_not1_b32 s43, s43, exec_lo
	s_and_b32 s46, s44, exec_lo
	s_delay_alu instid0(SALU_CYCLE_1)
	s_or_b32 s43, s43, s46
	s_and_not1_b32 exec_lo, exec_lo, s42
	s_cbranch_execz .LBB12_691
.LBB12_668:                             ;   Parent Loop BB12_77 Depth=1
                                        ; =>  This Inner Loop Header: Depth=2
	s_add_co_i32 s45, s45, 1
	s_delay_alu instid0(SALU_CYCLE_1) | instskip(SKIP_1) | instid1(SALU_CYCLE_1)
	s_cmp_lg_u32 s45, 0x2710
	s_cselect_b32 s46, -1, 0
	s_and_b32 vcc_lo, exec_lo, s46
	s_cbranch_vccz .LBB12_670
; %bb.669:                              ;   in Loop: Header=BB12_668 Depth=2
	s_mov_b32 s56, -1
	s_or_b32 s44, s44, exec_lo
	s_and_saveexec_b32 s47, s46
	s_cbranch_execz .LBB12_667
	s_branch .LBB12_671
.LBB12_670:                             ;   in Loop: Header=BB12_668 Depth=2
	s_trap 2
	ds_load_b64 v[10:11], v0
	s_and_not1_b32 s46, s46, exec_lo
	s_mov_b32 s45, 0
	s_wait_loadcnt_dscnt 0x0
	flat_load_b32 v10, v[10:11] scope:SCOPE_SYS
	s_wait_loadcnt_dscnt 0x0
	global_inv scope:SCOPE_SYS
	v_cmp_eq_u32_e32 vcc_lo, 0, v10
	s_and_b32 s47, vcc_lo, exec_lo
	s_delay_alu instid0(SALU_CYCLE_1)
	s_or_b32 s46, s46, s47
	s_mov_b32 s56, -1
	s_or_b32 s44, s44, exec_lo
	s_and_saveexec_b32 s47, s46
	s_cbranch_execz .LBB12_667
.LBB12_671:                             ;   in Loop: Header=BB12_668 Depth=2
	s_sleep 1
	s_trap 2
	ds_load_b64 v[10:11], v0
	s_wait_dscnt 0x0
	s_and_not1_b32 s44, s44, exec_lo
	v_cmp_ge_u64_e32 vcc_lo, v[10:11], v[26:27]
	s_or_not1_b32 s56, vcc_lo, exec_lo
	s_branch .LBB12_667
.LBB12_672:                             ;   in Loop: Header=BB12_77 Depth=1
	s_or_b32 exec_lo, exec_lo, s43
	s_and_saveexec_b32 s43, s44
	s_delay_alu instid0(SALU_CYCLE_1)
	s_xor_b32 s43, exec_lo, s43
	s_cbranch_execz .LBB12_674
; %bb.673:                              ;   in Loop: Header=BB12_77 Depth=1
	ds_store_b32 v0, v118
	s_trap 2
.LBB12_674:                             ;   in Loop: Header=BB12_77 Depth=1
	s_or_b32 exec_lo, exec_lo, s42
	;;#ASMSTART
	s_wakeup
	;;#ASMEND
.LBB12_675:                             ;   in Loop: Header=BB12_77 Depth=1
	s_or_b32 exec_lo, exec_lo, s21
.LBB12_676:                             ;   in Loop: Header=BB12_77 Depth=1
	s_and_not1_saveexec_b32 s20, s20
	s_cbranch_execz .LBB12_678
; %bb.677:                              ;   in Loop: Header=BB12_77 Depth=1
	global_wb scope:SCOPE_DEV
	s_wait_storecnt 0x0
	s_wait_loadcnt_dscnt 0x0
	global_inv scope:SCOPE_DEV
	s_barrier_signal -1
	s_barrier_wait -1
.LBB12_678:                             ;   in Loop: Header=BB12_77 Depth=1
	s_or_b32 exec_lo, exec_lo, s20
.LBB12_679:                             ;   in Loop: Header=BB12_77 Depth=1
	s_delay_alu instid0(SALU_CYCLE_1) | instskip(SKIP_3) | instid1(VALU_DEP_1)
	s_or_b32 exec_lo, exec_lo, s15
	s_trap 2
	ds_load_b32 v87, v0
	v_and_b32_e32 v10, 0x4000, v116
	v_cmp_ne_u32_e32 vcc_lo, 0, v10
	s_and_b32 s20, s29, vcc_lo
	s_delay_alu instid0(SALU_CYCLE_1)
	s_and_saveexec_b32 s15, s20
	s_cbranch_execz .LBB12_751
; %bb.680:                              ;   in Loop: Header=BB12_77 Depth=1
	s_and_saveexec_b32 s20, s4
	s_delay_alu instid0(SALU_CYCLE_1)
	s_xor_b32 s20, exec_lo, s20
	s_cbranch_execz .LBB12_748
; %bb.681:                              ;   in Loop: Header=BB12_77 Depth=1
	s_and_saveexec_b32 s21, s7
	s_cbranch_execz .LBB12_747
; %bb.682:                              ;   in Loop: Header=BB12_77 Depth=1
	s_mov_b32 s43, exec_lo
	s_mov_b32 s42, exec_lo
	v_mbcnt_lo_u32_b32 v10, s43, 0
	global_wb scope:SCOPE_DEV
	s_wait_storecnt 0x0
	s_wait_loadcnt_dscnt 0x0
	global_inv scope:SCOPE_DEV
	v_cmpx_eq_u32_e32 0, v10
	s_cbranch_execz .LBB12_684
; %bb.683:                              ;   in Loop: Header=BB12_77 Depth=1
	s_bcnt1_i32_b32 s43, s43
	s_delay_alu instid0(SALU_CYCLE_1)
	v_mov_b32_e32 v34, s43
	s_wait_loadcnt 0x0
	ds_add_u64 v0, v[34:35]
	s_trap 2
.LBB12_684:                             ;   in Loop: Header=BB12_77 Depth=1
	s_or_b32 exec_lo, exec_lo, s42
	s_trap 2
	ds_load_b64 v[10:11], v0
	s_wait_dscnt 0x0
	v_add_nc_u64_e32 v[26:27], v[26:27], v[36:37]
	s_mov_b32 s42, exec_lo
	s_delay_alu instid0(VALU_DEP_1)
	v_cmpx_lt_u64_e64 v[10:11], v[26:27]
	s_cbranch_execz .LBB12_746
; %bb.685:                              ;   in Loop: Header=BB12_77 Depth=1
	s_mov_b32 s43, 0
	s_mov_b32 s46, 0
                                        ; implicit-def: $sgpr44
                                        ; implicit-def: $sgpr45
	s_branch .LBB12_687
.LBB12_686:                             ;   in Loop: Header=BB12_687 Depth=2
	s_or_b32 exec_lo, exec_lo, s56
	s_delay_alu instid0(SALU_CYCLE_1) | instskip(NEXT) | instid1(SALU_CYCLE_1)
	s_and_b32 s47, exec_lo, s57
	s_or_b32 s43, s47, s43
	s_and_not1_b32 s44, s44, exec_lo
	s_and_b32 s47, s45, exec_lo
	s_delay_alu instid0(SALU_CYCLE_1)
	s_or_b32 s44, s44, s47
	s_and_not1_b32 exec_lo, exec_lo, s43
	s_cbranch_execz .LBB12_744
.LBB12_687:                             ;   Parent Loop BB12_77 Depth=1
                                        ; =>  This Inner Loop Header: Depth=2
	s_add_co_i32 s46, s46, 1
	s_delay_alu instid0(SALU_CYCLE_1) | instskip(SKIP_1) | instid1(SALU_CYCLE_1)
	s_cmp_lg_u32 s46, 0x2710
	s_cselect_b32 s47, -1, 0
	s_and_b32 vcc_lo, exec_lo, s47
	s_cbranch_vccz .LBB12_689
; %bb.688:                              ;   in Loop: Header=BB12_687 Depth=2
	s_mov_b32 s57, -1
	s_or_b32 s45, s45, exec_lo
	s_and_saveexec_b32 s56, s47
	s_cbranch_execz .LBB12_686
	s_branch .LBB12_690
.LBB12_689:                             ;   in Loop: Header=BB12_687 Depth=2
	s_trap 2
	ds_load_b64 v[10:11], v0
	s_and_not1_b32 s47, s47, exec_lo
	s_mov_b32 s46, 0
	s_wait_loadcnt_dscnt 0x0
	flat_load_b32 v10, v[10:11] scope:SCOPE_SYS
	s_wait_loadcnt_dscnt 0x0
	global_inv scope:SCOPE_SYS
	v_cmp_eq_u32_e32 vcc_lo, 0, v10
	s_and_b32 s56, vcc_lo, exec_lo
	s_delay_alu instid0(SALU_CYCLE_1)
	s_or_b32 s47, s47, s56
	s_mov_b32 s57, -1
	s_or_b32 s45, s45, exec_lo
	s_and_saveexec_b32 s56, s47
	s_cbranch_execz .LBB12_686
.LBB12_690:                             ;   in Loop: Header=BB12_687 Depth=2
	s_sleep 1
	s_trap 2
	ds_load_b64 v[10:11], v0
	s_wait_dscnt 0x0
	s_and_not1_b32 s45, s45, exec_lo
	v_cmp_ge_u64_e32 vcc_lo, v[10:11], v[26:27]
	s_or_not1_b32 s57, vcc_lo, exec_lo
	s_branch .LBB12_686
.LBB12_691:                             ;   in Loop: Header=BB12_77 Depth=1
	s_or_b32 exec_lo, exec_lo, s42
	s_and_saveexec_b32 s42, s43
	s_delay_alu instid0(SALU_CYCLE_1)
	s_xor_b32 s42, exec_lo, s42
	s_cbranch_execz .LBB12_693
; %bb.692:                              ;   in Loop: Header=BB12_77 Depth=1
	ds_store_b32 v0, v118
	s_trap 2
.LBB12_693:                             ;   in Loop: Header=BB12_77 Depth=1
	s_or_b32 exec_lo, exec_lo, s40
	;;#ASMSTART
	s_wakeup
	;;#ASMEND
.LBB12_694:                             ;   in Loop: Header=BB12_77 Depth=1
	s_or_b32 exec_lo, exec_lo, s21
.LBB12_695:                             ;   in Loop: Header=BB12_77 Depth=1
	s_and_not1_saveexec_b32 s20, s20
	s_cbranch_execz .LBB12_697
; %bb.696:                              ;   in Loop: Header=BB12_77 Depth=1
	global_wb scope:SCOPE_DEV
	s_wait_storecnt 0x0
	s_wait_loadcnt_dscnt 0x0
	global_inv scope:SCOPE_DEV
	s_barrier_signal -1
	s_barrier_wait -1
.LBB12_697:                             ;   in Loop: Header=BB12_77 Depth=1
	s_or_b32 exec_lo, exec_lo, s20
.LBB12_698:                             ;   in Loop: Header=BB12_77 Depth=1
	s_delay_alu instid0(SALU_CYCLE_1)
	s_or_b32 exec_lo, exec_lo, s16
	s_trap 2
	ds_load_b64 v[10:11], v0
	v_min_i32_e32 v86, v86, v43
	s_wait_dscnt 0x0
	v_cmp_eq_u64_e32 vcc_lo, 0, v[10:11]
	s_cbranch_vccnz .LBB12_732
; %bb.699:                              ;   in Loop: Header=BB12_77 Depth=1
	s_trap 2
	ds_load_b64 v[12:13], v0
	s_wait_dscnt 0x0
	v_cmp_eq_u64_e32 vcc_lo, 0, v[12:13]
	s_cbranch_vccnz .LBB12_732
; %bb.700:                              ;   in Loop: Header=BB12_77 Depth=1
	s_mov_b32 s16, -1
	s_and_saveexec_b32 s20, s10
	s_cbranch_execz .LBB12_702
; %bb.701:                              ;   in Loop: Header=BB12_77 Depth=1
	ds_load_b32 v34, v0 offset:720
	s_wait_dscnt 0x0
	v_and_b32_e32 v34, 15, v34
	s_delay_alu instid0(VALU_DEP_1)
	v_cmp_eq_u32_e32 vcc_lo, 0, v34
	s_or_not1_b32 s16, vcc_lo, exec_lo
.LBB12_702:                             ;   in Loop: Header=BB12_77 Depth=1
	s_or_b32 exec_lo, exec_lo, s20
	s_and_saveexec_b32 s20, s13
	s_cbranch_execz .LBB12_704
; %bb.703:                              ;   in Loop: Header=BB12_77 Depth=1
	ds_load_b32 v34, v0 offset:784
	s_wait_dscnt 0x0
	v_and_b32_e32 v34, 15, v34
	s_delay_alu instid0(VALU_DEP_1) | instskip(SKIP_3) | instid1(SALU_CYCLE_1)
	v_cmp_eq_u32_e32 vcc_lo, 0, v34
	s_and_b32 s21, s16, vcc_lo
	s_and_not1_b32 s16, s16, exec_lo
	s_and_b32 s21, s21, exec_lo
	s_or_b32 s16, s16, s21
.LBB12_704:                             ;   in Loop: Header=BB12_77 Depth=1
	s_or_b32 exec_lo, exec_lo, s20
	v_cmp_eq_u32_e32 vcc_lo, 0, v87
	s_xor_b32 s16, s16, -1
	s_mov_b32 s21, -1
	v_cndmask_b32_e64 v96, 0, 1, s16
	v_dual_mov_b32 v87, 0 :: v_dual_cndmask_b32 v34, 0, v86
	v_mov_b32_e32 v99, v0
	s_delay_alu instid0(VALU_DEP_3) | instskip(NEXT) | instid1(VALU_DEP_3)
	v_cmp_ne_u32_e32 vcc_lo, 0, v96
	v_dual_mov_b32 v96, v41 :: v_dual_mov_b32 v98, v34
	s_cbranch_vccnz .LBB12_718
; %bb.705:                              ;   in Loop: Header=BB12_77 Depth=1
	v_ashrrev_i32_e32 v87, 31, v34
	s_mov_b32 s16, exec_lo
	s_delay_alu instid0(VALU_DEP_1) | instskip(NEXT) | instid1(VALU_DEP_1)
	v_lshrrev_b32_e32 v87, 20, v87
	v_add_nc_u32_e32 v87, v34, v87
	s_delay_alu instid0(VALU_DEP_1) | instskip(NEXT) | instid1(VALU_DEP_1)
	v_ashrrev_i32_e32 v87, 12, v87
	v_sub_nc_u32_e32 v101, v87, v41
	s_delay_alu instid0(VALU_DEP_1)
	v_cmpx_lt_i32_e32 0, v101
	s_cbranch_execz .LBB12_709
; %bb.706:                              ;   in Loop: Header=BB12_77 Depth=1
	v_mov_b64_e32 v[96:97], v[12:13]
	v_mov_b64_e32 v[98:99], v[10:11]
	s_mov_b32 s20, 0
.LBB12_707:                             ;   Parent Loop BB12_77 Depth=1
                                        ; =>  This Inner Loop Header: Depth=2
	s_delay_alu instid0(VALU_DEP_1)
	v_add_nc_u64_e32 v[102:103], v[84:85], v[98:99]
	v_sub_nc_u32_e32 v101, v101, v36
	v_add_nc_u64_e32 v[98:99], v[98:99], v[66:67]
	s_clause 0x7
	global_load_b128 v[112:115], v[102:103], off th:TH_LOAD_NT
	global_load_b128 v[44:47], v[102:103], off offset:512 th:TH_LOAD_NT
	global_load_b128 v[56:59], v[102:103], off offset:1024 th:TH_LOAD_NT
	;; [unrolled: 1-line block ×7, first 2 shown]
	s_wait_xcnt 0x0
	v_add_nc_u64_e32 v[102:103], v[84:85], v[96:97]
	v_add_nc_u64_e32 v[96:97], v[96:97], v[66:67]
	v_cmp_gt_i32_e32 vcc_lo, 1, v101
	s_wait_loadcnt 0x7
	global_store_b128 v[102:103], v[112:115], off th:TH_STORE_NT
	s_wait_loadcnt 0x6
	global_store_b128 v[102:103], v[44:47], off offset:512 th:TH_STORE_NT
	s_wait_loadcnt 0x5
	global_store_b128 v[102:103], v[56:59], off offset:1024 th:TH_STORE_NT
	;; [unrolled: 2-line block ×7, first 2 shown]
	s_or_b32 s20, vcc_lo, s20
	s_wait_xcnt 0x0
	s_and_not1_b32 exec_lo, exec_lo, s20
	s_cbranch_execnz .LBB12_707
; %bb.708:                              ;   in Loop: Header=BB12_77 Depth=1
	s_or_b32 exec_lo, exec_lo, s20
.LBB12_709:                             ;   in Loop: Header=BB12_77 Depth=1
	s_delay_alu instid0(SALU_CYCLE_1) | instskip(SKIP_3) | instid1(VALU_DEP_1)
	s_or_b32 exec_lo, exec_lo, s16
	v_dual_mov_b32 v87, 0 :: v_dual_lshlrev_b32 v100, 12, v87
	s_mov_b32 s21, 0
	s_mov_b32 s20, exec_lo
                                        ; implicit-def: $vgpr98
                                        ; implicit-def: $vgpr99
                                        ; implicit-def: $vgpr96
	v_cmpx_ne_u32_e64 v34, v100
	s_cbranch_execz .LBB12_717
; %bb.710:                              ;   in Loop: Header=BB12_77 Depth=1
	v_dual_lshlrev_b32 v87, 5, v101 :: v_dual_sub_nc_u32 v97, v34, v100
	s_mov_b32 s21, exec_lo
	s_delay_alu instid0(VALU_DEP_1) | instskip(NEXT) | instid1(VALU_DEP_1)
	v_dual_sub_nc_u32 v87, v42, v87 :: v_dual_ashrrev_i32 v98, 31, v97
	v_dual_ashrrev_i32 v96, 31, v87 :: v_dual_lshrrev_b32 v98, 23, v98
	s_delay_alu instid0(VALU_DEP_1) | instskip(NEXT) | instid1(VALU_DEP_1)
	v_lshrrev_b32_e32 v96, 27, v96
	v_add_nc_u32_e32 v96, v87, v96
	s_delay_alu instid0(VALU_DEP_1) | instskip(NEXT) | instid1(VALU_DEP_1)
	v_and_b32_e32 v99, 0xffffffe0, v96
	v_dual_add_nc_u32 v98, v97, v98 :: v_dual_sub_nc_u32 v102, v87, v99
	s_delay_alu instid0(VALU_DEP_1) | instskip(SKIP_1) | instid1(VALU_DEP_2)
	v_and_b32_e32 v101, 0xfffffe00, v98
	v_dual_ashrrev_i32 v99, 5, v96 :: v_dual_ashrrev_i32 v98, 9, v98
	v_dual_lshlrev_b32 v87, 4, v102 :: v_dual_sub_nc_u32 v103, v97, v101
	s_delay_alu instid0(VALU_DEP_1) | instskip(NEXT) | instid1(VALU_DEP_2)
	v_lshl_add_u32 v96, v99, 9, v87
	v_cmp_lt_i32_e32 vcc_lo, 15, v103
	s_delay_alu instid0(VALU_DEP_4) | instskip(NEXT) | instid1(VALU_DEP_1)
	v_add_co_ci_u32_e64 v98, null, 0, v98, vcc_lo
	v_dual_sub_nc_u32 v87, v97, v96 :: v_dual_sub_nc_u32 v112, v98, v99
	s_delay_alu instid0(VALU_DEP_1)
	v_cmpx_lt_i32_e32 15, v87
	s_cbranch_execz .LBB12_714
; %bb.711:                              ;   in Loop: Header=BB12_77 Depth=1
	v_add_nc_u32_e32 v96, v96, v100
	s_mov_b32 s40, 0
	s_delay_alu instid0(VALU_DEP_1)
	v_ashrrev_i32_e32 v97, 31, v96
.LBB12_712:                             ;   Parent Loop BB12_77 Depth=1
                                        ; =>  This Inner Loop Header: Depth=2
	s_delay_alu instid0(VALU_DEP_1) | instskip(SKIP_2) | instid1(VALU_DEP_2)
	v_add_nc_u64_e32 v[98:99], v[10:11], v[96:97]
	v_sub_nc_u32_e32 v87, v87, v40
	v_sub_nc_u32_e32 v112, v112, v36
	v_cmp_gt_i32_e64 s16, 16, v87
	global_load_b128 v[44:47], v[98:99], off th:TH_LOAD_NT
	s_wait_xcnt 0x0
	v_add_nc_u64_e32 v[98:99], v[12:13], v[96:97]
	v_add_nc_u64_e32 v[96:97], v[96:97], v[82:83]
	s_or_b32 s40, s16, s40
	s_wait_loadcnt 0x0
	global_store_b128 v[98:99], v[44:47], off th:TH_STORE_NT
	s_wait_xcnt 0x0
	s_and_not1_b32 exec_lo, exec_lo, s40
	s_cbranch_execnz .LBB12_712
; %bb.713:                              ;   in Loop: Header=BB12_77 Depth=1
	s_or_b32 exec_lo, exec_lo, s40
.LBB12_714:                             ;   in Loop: Header=BB12_77 Depth=1
	s_delay_alu instid0(SALU_CYCLE_1) | instskip(SKIP_3) | instid1(VALU_DEP_1)
	s_or_b32 exec_lo, exec_lo, s21
	v_dual_mov_b32 v87, 0 :: v_dual_bitop2_b32 v97, 15, v34 bitop3:0x40
	s_mov_b32 s21, 0
	s_mov_b32 s40, exec_lo
                                        ; implicit-def: $vgpr99
                                        ; implicit-def: $vgpr96
	v_cndmask_b32_e32 v98, v103, v97, vcc_lo
	s_delay_alu instid0(VALU_DEP_1)
	v_cmpx_ne_u32_e32 0, v98
	s_cbranch_execz .LBB12_716
; %bb.715:                              ;   in Loop: Header=BB12_77 Depth=1
	v_cmp_lt_i32_e64 s16, 0, v112
	s_mov_b32 s21, exec_lo
	v_dual_sub_nc_u32 v96, v103, v97 :: v_dual_cndmask_b32 v87, 0, v36, s16
	s_delay_alu instid0(VALU_DEP_1) | instskip(NEXT) | instid1(VALU_DEP_2)
	v_cndmask_b32_e32 v96, 0, v96, vcc_lo
	v_sub_nc_u32_e32 v87, v87, v112
	s_delay_alu instid0(VALU_DEP_1) | instskip(NEXT) | instid1(VALU_DEP_1)
	v_lshl_add_u32 v99, v87, 5, v102
	v_ashrrev_i32_e32 v87, 31, v99
	s_delay_alu instid0(VALU_DEP_1) | instskip(NEXT) | instid1(VALU_DEP_1)
	v_lshrrev_b32_e32 v87, 27, v87
	v_add_nc_u32_e32 v97, v99, v87
	v_add3_u32 v87, v101, v100, v96
	s_delay_alu instid0(VALU_DEP_2)
	v_ashrrev_i32_e32 v96, 5, v97
.LBB12_716:                             ;   in Loop: Header=BB12_77 Depth=1
	s_or_b32 exec_lo, exec_lo, s40
	s_delay_alu instid0(SALU_CYCLE_1)
	s_and_b32 s21, s21, exec_lo
.LBB12_717:                             ;   in Loop: Header=BB12_77 Depth=1
	s_or_b32 exec_lo, exec_lo, s20
.LBB12_718:                             ;   in Loop: Header=BB12_77 Depth=1
	s_and_saveexec_b32 s16, s21
	s_cbranch_execz .LBB12_727
; %bb.719:                              ;   in Loop: Header=BB12_77 Depth=1
	s_delay_alu instid0(VALU_DEP_1) | instskip(SKIP_1) | instid1(VALU_DEP_1)
	v_ashrrev_i32_e32 v97, 31, v98
	s_mov_b32 s20, exec_lo
	v_lshrrev_b32_e32 v97, 22, v97
	s_delay_alu instid0(VALU_DEP_1) | instskip(NEXT) | instid1(VALU_DEP_1)
	v_add_nc_u32_e32 v97, v98, v97
	v_dual_ashrrev_i32 v102, 10, v97 :: v_dual_ashrrev_i32 v97, 31, v99
	s_delay_alu instid0(VALU_DEP_1) | instskip(NEXT) | instid1(VALU_DEP_1)
	v_dual_sub_nc_u32 v100, v102, v96 :: v_dual_lshrrev_b32 v101, 27, v97
	v_cmpx_lt_i32_e32 0, v100
	s_cbranch_execz .LBB12_723
; %bb.720:                              ;   in Loop: Header=BB12_77 Depth=1
	s_delay_alu instid0(VALU_DEP_2) | instskip(SKIP_1) | instid1(VALU_DEP_1)
	v_dual_add_nc_u32 v97, v99, v101 :: v_dual_lshlrev_b32 v96, 10, v96
	s_mov_b32 s21, 0
	v_and_b32_e32 v97, 0xffffffe0, v97
	s_delay_alu instid0(VALU_DEP_1) | instskip(NEXT) | instid1(VALU_DEP_1)
	v_sub_nc_u32_e32 v97, v99, v97
	v_add3_u32 v96, v87, v97, v96
	s_delay_alu instid0(VALU_DEP_1)
	v_ashrrev_i32_e32 v97, 31, v96
.LBB12_721:                             ;   Parent Loop BB12_77 Depth=1
                                        ; =>  This Inner Loop Header: Depth=2
	s_delay_alu instid0(VALU_DEP_1)
	v_add_nc_u64_e32 v[112:113], v[96:97], v[10:11]
	v_sub_nc_u32_e32 v100, v100, v36
	v_add_nc_u64_e32 v[10:11], v[10:11], v[54:55]
	s_clause 0x1f
	flat_load_u8 v103, v[112:113] th:TH_LOAD_NT
	flat_load_u8 v114, v[112:113] offset:32 th:TH_LOAD_NT
	flat_load_u8 v115, v[112:113] offset:64 th:TH_LOAD_NT
	flat_load_u8 v44, v[112:113] offset:96 th:TH_LOAD_NT
	flat_load_u8 v45, v[112:113] offset:128 th:TH_LOAD_NT
	flat_load_u8 v46, v[112:113] offset:160 th:TH_LOAD_NT
	flat_load_u8 v47, v[112:113] offset:192 th:TH_LOAD_NT
	flat_load_u8 v56, v[112:113] offset:224 th:TH_LOAD_NT
	flat_load_u8 v57, v[112:113] offset:256 th:TH_LOAD_NT
	flat_load_u8 v58, v[112:113] offset:288 th:TH_LOAD_NT
	flat_load_u8 v59, v[112:113] offset:320 th:TH_LOAD_NT
	flat_load_u8 v60, v[112:113] offset:352 th:TH_LOAD_NT
	flat_load_u8 v61, v[112:113] offset:384 th:TH_LOAD_NT
	flat_load_u8 v62, v[112:113] offset:416 th:TH_LOAD_NT
	flat_load_u8 v63, v[112:113] offset:448 th:TH_LOAD_NT
	flat_load_u8 v72, v[112:113] offset:480 th:TH_LOAD_NT
	flat_load_u8 v73, v[112:113] offset:512 th:TH_LOAD_NT
	flat_load_u8 v74, v[112:113] offset:544 th:TH_LOAD_NT
	flat_load_u8 v75, v[112:113] offset:576 th:TH_LOAD_NT
	flat_load_u8 v76, v[112:113] offset:608 th:TH_LOAD_NT
	flat_load_u8 v77, v[112:113] offset:640 th:TH_LOAD_NT
	flat_load_u8 v78, v[112:113] offset:672 th:TH_LOAD_NT
	flat_load_u8 v79, v[112:113] offset:704 th:TH_LOAD_NT
	flat_load_u8 v88, v[112:113] offset:736 th:TH_LOAD_NT
	flat_load_u8 v89, v[112:113] offset:768 th:TH_LOAD_NT
	flat_load_u8 v90, v[112:113] offset:800 th:TH_LOAD_NT
	flat_load_u8 v91, v[112:113] offset:832 th:TH_LOAD_NT
	flat_load_u8 v92, v[112:113] offset:864 th:TH_LOAD_NT
	flat_load_u8 v93, v[112:113] offset:896 th:TH_LOAD_NT
	flat_load_u8 v94, v[112:113] offset:928 th:TH_LOAD_NT
	flat_load_u8 v95, v[112:113] offset:960 th:TH_LOAD_NT
	flat_load_u8 v104, v[112:113] offset:992 th:TH_LOAD_NT
	s_wait_xcnt 0x0
	v_add_nc_u64_e32 v[112:113], v[96:97], v[12:13]
	v_add_nc_u64_e32 v[12:13], v[12:13], v[54:55]
	v_cmp_gt_i32_e32 vcc_lo, 1, v100
	s_wait_loadcnt_dscnt 0x1f1f
	flat_store_b8 v[112:113], v103 th:TH_STORE_NT
	s_wait_loadcnt_dscnt 0x1e1f
	flat_store_b8 v[112:113], v114 offset:32 th:TH_STORE_NT
	s_wait_loadcnt_dscnt 0x1d1f
	flat_store_b8 v[112:113], v115 offset:64 th:TH_STORE_NT
	;; [unrolled: 2-line block ×31, first 2 shown]
	s_or_b32 s21, vcc_lo, s21
	s_wait_xcnt 0x0
	s_and_not1_b32 exec_lo, exec_lo, s21
	s_cbranch_execnz .LBB12_721
; %bb.722:                              ;   in Loop: Header=BB12_77 Depth=1
	s_or_b32 exec_lo, exec_lo, s21
.LBB12_723:                             ;   in Loop: Header=BB12_77 Depth=1
	s_delay_alu instid0(SALU_CYCLE_1) | instskip(SKIP_1) | instid1(VALU_DEP_1)
	s_or_b32 exec_lo, exec_lo, s20
	v_lshlrev_b32_e32 v10, 10, v102
	v_cmp_ne_u32_e32 vcc_lo, v98, v10
	s_and_b32 exec_lo, exec_lo, vcc_lo
	s_cbranch_execz .LBB12_727
; %bb.724:                              ;   in Loop: Header=BB12_77 Depth=1
	v_dual_add_nc_u32 v11, v99, v101 :: v_dual_lshlrev_b32 v12, 5, v100
	s_delay_alu instid0(VALU_DEP_1) | instskip(NEXT) | instid1(VALU_DEP_1)
	v_and_b32_e32 v11, 0xffffffe0, v11
	v_sub_nc_u32_e32 v11, v99, v11
	s_delay_alu instid0(VALU_DEP_1) | instskip(NEXT) | instid1(VALU_DEP_1)
	v_sub_nc_u32_e32 v11, v11, v12
	v_add_nc_u32_e32 v12, v10, v11
	s_delay_alu instid0(VALU_DEP_1) | instskip(NEXT) | instid1(VALU_DEP_1)
	v_sub_nc_u32_e32 v96, v98, v12
	v_cmp_lt_i32_e32 vcc_lo, 0, v96
	s_and_b32 exec_lo, exec_lo, vcc_lo
	s_cbranch_execz .LBB12_727
; %bb.725:                              ;   in Loop: Header=BB12_77 Depth=1
	s_trap 2
	ds_load_b64 v[10:11], v0
	v_add_nc_u32_e32 v12, v12, v87
	s_mov_b32 s20, 0
	s_delay_alu instid0(VALU_DEP_1)
	v_ashrrev_i32_e32 v13, 31, v12
.LBB12_726:                             ;   Parent Loop BB12_77 Depth=1
                                        ; =>  This Inner Loop Header: Depth=2
	s_wait_dscnt 0x0
	s_delay_alu instid0(VALU_DEP_1) | instskip(SKIP_2) | instid1(VALU_DEP_2)
	v_add_nc_u64_e32 v[98:99], v[10:11], v[12:13]
	v_sub_nc_u32_e32 v96, v96, v1
	v_add_nc_u64_e32 v[12:13], v[12:13], v[80:81]
	v_cmp_gt_i32_e32 vcc_lo, 1, v96
	flat_load_u8 v87, v[98:99] th:TH_LOAD_NT
	s_or_b32 s20, vcc_lo, s20
	s_wait_loadcnt_dscnt 0x0
	flat_store_b8 v[98:99], v87 th:TH_STORE_NT
	s_wait_xcnt 0x0
	s_and_not1_b32 exec_lo, exec_lo, s20
	s_cbranch_execnz .LBB12_726
.LBB12_727:                             ;   in Loop: Header=BB12_77 Depth=1
	s_or_b32 exec_lo, exec_lo, s16
	v_cmp_lt_i32_e64 s16, 0, v34
	s_and_saveexec_b32 s20, s3
	s_cbranch_execnz .LBB12_733
.LBB12_728:                             ;   in Loop: Header=BB12_77 Depth=1
	s_or_b32 exec_lo, exec_lo, s20
	s_and_saveexec_b32 s20, s12
	s_delay_alu instid0(SALU_CYCLE_1)
	s_xor_b32 s20, exec_lo, s20
	s_cbranch_execz .LBB12_804
.LBB12_729:                             ;   in Loop: Header=BB12_77 Depth=1
	v_and_b32_e32 v10, 16, v116
	s_delay_alu instid0(VALU_DEP_1) | instskip(SKIP_1) | instid1(SALU_CYCLE_1)
	v_cmp_ne_u32_e32 vcc_lo, 0, v10
	s_and_b32 s21, vcc_lo, s16
	s_and_saveexec_b32 s16, s21
	s_cbranch_execz .LBB12_731
; %bb.730:                              ;   in Loop: Header=BB12_77 Depth=1
	global_wb scope:SCOPE_SYS
	s_wait_storecnt 0x0
	s_wait_loadcnt_dscnt 0x0
	global_inv scope:SCOPE_SYS
.LBB12_731:                             ;   in Loop: Header=BB12_77 Depth=1
	s_or_b32 exec_lo, exec_lo, s16
	s_and_not1_saveexec_b32 s16, s20
	s_cbranch_execz .LBB12_842
	s_branch .LBB12_805
.LBB12_732:                             ;   in Loop: Header=BB12_77 Depth=1
	s_mov_b32 s16, 0
	s_and_saveexec_b32 s20, s3
	s_cbranch_execz .LBB12_728
.LBB12_733:                             ;   in Loop: Header=BB12_77 Depth=1
	s_and_saveexec_b32 s21, s4
	s_delay_alu instid0(SALU_CYCLE_1)
	s_xor_b32 s21, exec_lo, s21
	s_cbranch_execz .LBB12_801
; %bb.734:                              ;   in Loop: Header=BB12_77 Depth=1
	s_and_saveexec_b32 s40, s7
	s_cbranch_execz .LBB12_800
; %bb.735:                              ;   in Loop: Header=BB12_77 Depth=1
	s_mov_b32 s43, exec_lo
	s_mov_b32 s42, exec_lo
	v_mbcnt_lo_u32_b32 v10, s43, 0
	global_wb scope:SCOPE_DEV
	s_wait_storecnt 0x0
	s_wait_loadcnt_dscnt 0x0
	global_inv scope:SCOPE_DEV
	v_cmpx_eq_u32_e32 0, v10
	s_cbranch_execz .LBB12_737
; %bb.736:                              ;   in Loop: Header=BB12_77 Depth=1
	s_bcnt1_i32_b32 s43, s43
	s_delay_alu instid0(SALU_CYCLE_1)
	v_mov_b32_e32 v34, s43
	s_wait_loadcnt 0x0
	ds_add_u64 v0, v[34:35]
	s_trap 2
.LBB12_737:                             ;   in Loop: Header=BB12_77 Depth=1
	s_or_b32 exec_lo, exec_lo, s42
	s_trap 2
	ds_load_b64 v[10:11], v0
	s_wait_dscnt 0x0
	v_add_nc_u64_e32 v[26:27], v[26:27], v[36:37]
	s_mov_b32 s42, exec_lo
	s_delay_alu instid0(VALU_DEP_1)
	v_cmpx_lt_u64_e64 v[10:11], v[26:27]
	s_cbranch_execz .LBB12_799
; %bb.738:                              ;   in Loop: Header=BB12_77 Depth=1
	s_mov_b32 s43, 0
	s_mov_b32 s46, 0
                                        ; implicit-def: $sgpr44
                                        ; implicit-def: $sgpr45
	s_branch .LBB12_740
.LBB12_739:                             ;   in Loop: Header=BB12_740 Depth=2
	s_or_b32 exec_lo, exec_lo, s56
	s_delay_alu instid0(SALU_CYCLE_1) | instskip(NEXT) | instid1(SALU_CYCLE_1)
	s_and_b32 s47, exec_lo, s57
	s_or_b32 s43, s47, s43
	s_and_not1_b32 s44, s44, exec_lo
	s_and_b32 s47, s45, exec_lo
	s_delay_alu instid0(SALU_CYCLE_1)
	s_or_b32 s44, s44, s47
	s_and_not1_b32 exec_lo, exec_lo, s43
	s_cbranch_execz .LBB12_797
.LBB12_740:                             ;   Parent Loop BB12_77 Depth=1
                                        ; =>  This Inner Loop Header: Depth=2
	s_add_co_i32 s46, s46, 1
	s_delay_alu instid0(SALU_CYCLE_1) | instskip(SKIP_1) | instid1(SALU_CYCLE_1)
	s_cmp_lg_u32 s46, 0x2710
	s_cselect_b32 s47, -1, 0
	s_and_b32 vcc_lo, exec_lo, s47
	s_cbranch_vccz .LBB12_742
; %bb.741:                              ;   in Loop: Header=BB12_740 Depth=2
	s_mov_b32 s57, -1
	s_or_b32 s45, s45, exec_lo
	s_and_saveexec_b32 s56, s47
	s_cbranch_execz .LBB12_739
	s_branch .LBB12_743
.LBB12_742:                             ;   in Loop: Header=BB12_740 Depth=2
	s_trap 2
	ds_load_b64 v[10:11], v0
	s_and_not1_b32 s47, s47, exec_lo
	s_mov_b32 s46, 0
	s_wait_loadcnt_dscnt 0x0
	flat_load_b32 v10, v[10:11] scope:SCOPE_SYS
	s_wait_loadcnt_dscnt 0x0
	global_inv scope:SCOPE_SYS
	v_cmp_eq_u32_e32 vcc_lo, 0, v10
	s_and_b32 s56, vcc_lo, exec_lo
	s_delay_alu instid0(SALU_CYCLE_1)
	s_or_b32 s47, s47, s56
	s_mov_b32 s57, -1
	s_or_b32 s45, s45, exec_lo
	s_and_saveexec_b32 s56, s47
	s_cbranch_execz .LBB12_739
.LBB12_743:                             ;   in Loop: Header=BB12_740 Depth=2
	s_sleep 1
	s_trap 2
	ds_load_b64 v[10:11], v0
	s_wait_dscnt 0x0
	s_and_not1_b32 s45, s45, exec_lo
	v_cmp_ge_u64_e32 vcc_lo, v[10:11], v[26:27]
	s_or_not1_b32 s57, vcc_lo, exec_lo
	s_branch .LBB12_739
.LBB12_744:                             ;   in Loop: Header=BB12_77 Depth=1
	s_or_b32 exec_lo, exec_lo, s43
	s_and_saveexec_b32 s43, s44
	s_delay_alu instid0(SALU_CYCLE_1)
	s_xor_b32 s43, exec_lo, s43
	s_cbranch_execz .LBB12_746
; %bb.745:                              ;   in Loop: Header=BB12_77 Depth=1
	ds_store_b32 v0, v118
	s_trap 2
.LBB12_746:                             ;   in Loop: Header=BB12_77 Depth=1
	s_or_b32 exec_lo, exec_lo, s42
	;;#ASMSTART
	s_wakeup
	;;#ASMEND
.LBB12_747:                             ;   in Loop: Header=BB12_77 Depth=1
	s_or_b32 exec_lo, exec_lo, s21
.LBB12_748:                             ;   in Loop: Header=BB12_77 Depth=1
	s_and_not1_saveexec_b32 s20, s20
	s_cbranch_execz .LBB12_750
; %bb.749:                              ;   in Loop: Header=BB12_77 Depth=1
	global_wb scope:SCOPE_DEV
	s_wait_storecnt 0x0
	s_wait_loadcnt_dscnt 0x0
	global_inv scope:SCOPE_DEV
	s_barrier_signal -1
	s_barrier_wait -1
.LBB12_750:                             ;   in Loop: Header=BB12_77 Depth=1
	s_or_b32 exec_lo, exec_lo, s20
.LBB12_751:                             ;   in Loop: Header=BB12_77 Depth=1
	s_delay_alu instid0(SALU_CYCLE_1)
	s_or_b32 exec_lo, exec_lo, s15
	s_trap 2
	ds_load_b64 v[10:11], v0
	s_wait_dscnt 0x0
	v_cmp_eq_u64_e32 vcc_lo, 0, v[10:11]
	s_cbranch_vccnz .LBB12_785
; %bb.752:                              ;   in Loop: Header=BB12_77 Depth=1
	s_trap 2
	ds_load_b64 v[12:13], v0
	s_wait_dscnt 0x0
	v_cmp_eq_u64_e32 vcc_lo, 0, v[12:13]
	s_cbranch_vccnz .LBB12_785
; %bb.753:                              ;   in Loop: Header=BB12_77 Depth=1
	s_mov_b32 s15, -1
	s_and_saveexec_b32 s20, s13
	s_cbranch_execz .LBB12_755
; %bb.754:                              ;   in Loop: Header=BB12_77 Depth=1
	ds_load_b32 v34, v0 offset:720
	s_wait_dscnt 0x0
	v_and_b32_e32 v34, 15, v34
	s_delay_alu instid0(VALU_DEP_1)
	v_cmp_eq_u32_e32 vcc_lo, 0, v34
	s_or_not1_b32 s15, vcc_lo, exec_lo
.LBB12_755:                             ;   in Loop: Header=BB12_77 Depth=1
	s_or_b32 exec_lo, exec_lo, s20
	s_and_saveexec_b32 s20, s10
	s_cbranch_execz .LBB12_757
; %bb.756:                              ;   in Loop: Header=BB12_77 Depth=1
	ds_load_b32 v34, v0 offset:784
	s_wait_dscnt 0x0
	v_and_b32_e32 v34, 15, v34
	s_delay_alu instid0(VALU_DEP_1) | instskip(SKIP_3) | instid1(SALU_CYCLE_1)
	v_cmp_eq_u32_e32 vcc_lo, 0, v34
	s_and_b32 s21, s15, vcc_lo
	s_and_not1_b32 s15, s15, exec_lo
	s_and_b32 s21, s21, exec_lo
	s_or_b32 s15, s15, s21
.LBB12_757:                             ;   in Loop: Header=BB12_77 Depth=1
	s_or_b32 exec_lo, exec_lo, s20
	v_cmp_eq_u32_e32 vcc_lo, 0, v87
	s_xor_b32 s15, s15, -1
	s_mov_b32 s21, -1
	v_cndmask_b32_e64 v96, 0, 1, s15
	v_dual_mov_b32 v87, 0 :: v_dual_cndmask_b32 v34, 0, v86
	v_mov_b32_e32 v99, v0
	s_delay_alu instid0(VALU_DEP_3) | instskip(NEXT) | instid1(VALU_DEP_3)
	v_cmp_ne_u32_e32 vcc_lo, 0, v96
	v_dual_mov_b32 v96, v41 :: v_dual_mov_b32 v98, v34
	s_cbranch_vccnz .LBB12_771
; %bb.758:                              ;   in Loop: Header=BB12_77 Depth=1
	v_ashrrev_i32_e32 v87, 31, v34
	s_mov_b32 s15, exec_lo
	s_delay_alu instid0(VALU_DEP_1) | instskip(NEXT) | instid1(VALU_DEP_1)
	v_lshrrev_b32_e32 v87, 20, v87
	v_add_nc_u32_e32 v87, v34, v87
	s_delay_alu instid0(VALU_DEP_1) | instskip(NEXT) | instid1(VALU_DEP_1)
	v_ashrrev_i32_e32 v87, 12, v87
	v_sub_nc_u32_e32 v101, v87, v41
	s_delay_alu instid0(VALU_DEP_1)
	v_cmpx_lt_i32_e32 0, v101
	s_cbranch_execz .LBB12_762
; %bb.759:                              ;   in Loop: Header=BB12_77 Depth=1
	v_mov_b64_e32 v[96:97], v[12:13]
	v_mov_b64_e32 v[98:99], v[10:11]
	s_mov_b32 s20, 0
.LBB12_760:                             ;   Parent Loop BB12_77 Depth=1
                                        ; =>  This Inner Loop Header: Depth=2
	s_delay_alu instid0(VALU_DEP_1)
	v_add_nc_u64_e32 v[102:103], v[84:85], v[98:99]
	v_sub_nc_u32_e32 v101, v101, v36
	v_add_nc_u64_e32 v[98:99], v[98:99], v[66:67]
	s_clause 0x7
	global_load_b128 v[112:115], v[102:103], off th:TH_LOAD_NT
	global_load_b128 v[44:47], v[102:103], off offset:512 th:TH_LOAD_NT
	global_load_b128 v[56:59], v[102:103], off offset:1024 th:TH_LOAD_NT
	;; [unrolled: 1-line block ×7, first 2 shown]
	s_wait_xcnt 0x0
	v_add_nc_u64_e32 v[102:103], v[84:85], v[96:97]
	v_add_nc_u64_e32 v[96:97], v[96:97], v[66:67]
	v_cmp_gt_i32_e32 vcc_lo, 1, v101
	s_wait_loadcnt 0x7
	global_store_b128 v[102:103], v[112:115], off th:TH_STORE_NT
	s_wait_loadcnt 0x6
	global_store_b128 v[102:103], v[44:47], off offset:512 th:TH_STORE_NT
	s_wait_loadcnt 0x5
	global_store_b128 v[102:103], v[56:59], off offset:1024 th:TH_STORE_NT
	;; [unrolled: 2-line block ×7, first 2 shown]
	s_or_b32 s20, vcc_lo, s20
	s_wait_xcnt 0x0
	s_and_not1_b32 exec_lo, exec_lo, s20
	s_cbranch_execnz .LBB12_760
; %bb.761:                              ;   in Loop: Header=BB12_77 Depth=1
	s_or_b32 exec_lo, exec_lo, s20
.LBB12_762:                             ;   in Loop: Header=BB12_77 Depth=1
	s_delay_alu instid0(SALU_CYCLE_1) | instskip(SKIP_3) | instid1(VALU_DEP_1)
	s_or_b32 exec_lo, exec_lo, s15
	v_dual_mov_b32 v87, 0 :: v_dual_lshlrev_b32 v100, 12, v87
	s_mov_b32 s21, 0
	s_mov_b32 s20, exec_lo
                                        ; implicit-def: $vgpr98
                                        ; implicit-def: $vgpr99
                                        ; implicit-def: $vgpr96
	v_cmpx_ne_u32_e64 v34, v100
	s_cbranch_execz .LBB12_770
; %bb.763:                              ;   in Loop: Header=BB12_77 Depth=1
	v_dual_lshlrev_b32 v87, 5, v101 :: v_dual_sub_nc_u32 v97, v34, v100
	s_mov_b32 s21, exec_lo
	s_delay_alu instid0(VALU_DEP_1) | instskip(NEXT) | instid1(VALU_DEP_1)
	v_dual_sub_nc_u32 v87, v42, v87 :: v_dual_ashrrev_i32 v98, 31, v97
	v_dual_ashrrev_i32 v96, 31, v87 :: v_dual_lshrrev_b32 v98, 23, v98
	s_delay_alu instid0(VALU_DEP_1) | instskip(NEXT) | instid1(VALU_DEP_1)
	v_lshrrev_b32_e32 v96, 27, v96
	v_add_nc_u32_e32 v96, v87, v96
	s_delay_alu instid0(VALU_DEP_1) | instskip(NEXT) | instid1(VALU_DEP_1)
	v_and_b32_e32 v99, 0xffffffe0, v96
	v_dual_add_nc_u32 v98, v97, v98 :: v_dual_sub_nc_u32 v102, v87, v99
	s_delay_alu instid0(VALU_DEP_1) | instskip(SKIP_1) | instid1(VALU_DEP_2)
	v_and_b32_e32 v101, 0xfffffe00, v98
	v_dual_ashrrev_i32 v99, 5, v96 :: v_dual_ashrrev_i32 v98, 9, v98
	v_dual_lshlrev_b32 v87, 4, v102 :: v_dual_sub_nc_u32 v103, v97, v101
	s_delay_alu instid0(VALU_DEP_1) | instskip(NEXT) | instid1(VALU_DEP_2)
	v_lshl_add_u32 v96, v99, 9, v87
	v_cmp_lt_i32_e32 vcc_lo, 15, v103
	s_delay_alu instid0(VALU_DEP_4) | instskip(NEXT) | instid1(VALU_DEP_1)
	v_add_co_ci_u32_e64 v98, null, 0, v98, vcc_lo
	v_dual_sub_nc_u32 v87, v97, v96 :: v_dual_sub_nc_u32 v112, v98, v99
	s_delay_alu instid0(VALU_DEP_1)
	v_cmpx_lt_i32_e32 15, v87
	s_cbranch_execz .LBB12_767
; %bb.764:                              ;   in Loop: Header=BB12_77 Depth=1
	v_add_nc_u32_e32 v96, v96, v100
	s_mov_b32 s42, 0
	s_delay_alu instid0(VALU_DEP_1)
	v_ashrrev_i32_e32 v97, 31, v96
.LBB12_765:                             ;   Parent Loop BB12_77 Depth=1
                                        ; =>  This Inner Loop Header: Depth=2
	s_delay_alu instid0(VALU_DEP_1) | instskip(SKIP_2) | instid1(VALU_DEP_2)
	v_add_nc_u64_e32 v[98:99], v[10:11], v[96:97]
	v_sub_nc_u32_e32 v87, v87, v40
	v_sub_nc_u32_e32 v112, v112, v36
	v_cmp_gt_i32_e64 s15, 16, v87
	global_load_b128 v[44:47], v[98:99], off th:TH_LOAD_NT
	s_wait_xcnt 0x0
	v_add_nc_u64_e32 v[98:99], v[12:13], v[96:97]
	v_add_nc_u64_e32 v[96:97], v[96:97], v[82:83]
	s_or_b32 s42, s15, s42
	s_wait_loadcnt 0x0
	global_store_b128 v[98:99], v[44:47], off th:TH_STORE_NT
	s_wait_xcnt 0x0
	s_and_not1_b32 exec_lo, exec_lo, s42
	s_cbranch_execnz .LBB12_765
; %bb.766:                              ;   in Loop: Header=BB12_77 Depth=1
	s_or_b32 exec_lo, exec_lo, s42
.LBB12_767:                             ;   in Loop: Header=BB12_77 Depth=1
	s_delay_alu instid0(SALU_CYCLE_1) | instskip(SKIP_3) | instid1(VALU_DEP_1)
	s_or_b32 exec_lo, exec_lo, s21
	v_dual_mov_b32 v87, 0 :: v_dual_bitop2_b32 v97, 15, v34 bitop3:0x40
	s_mov_b32 s21, 0
	s_mov_b32 s42, exec_lo
                                        ; implicit-def: $vgpr99
                                        ; implicit-def: $vgpr96
	v_cndmask_b32_e32 v98, v103, v97, vcc_lo
	s_delay_alu instid0(VALU_DEP_1)
	v_cmpx_ne_u32_e32 0, v98
	s_cbranch_execz .LBB12_769
; %bb.768:                              ;   in Loop: Header=BB12_77 Depth=1
	v_cmp_lt_i32_e64 s15, 0, v112
	s_mov_b32 s21, exec_lo
	v_dual_sub_nc_u32 v96, v103, v97 :: v_dual_cndmask_b32 v87, 0, v36, s15
	s_delay_alu instid0(VALU_DEP_1) | instskip(NEXT) | instid1(VALU_DEP_2)
	v_cndmask_b32_e32 v96, 0, v96, vcc_lo
	v_sub_nc_u32_e32 v87, v87, v112
	s_delay_alu instid0(VALU_DEP_1) | instskip(NEXT) | instid1(VALU_DEP_1)
	v_lshl_add_u32 v99, v87, 5, v102
	v_ashrrev_i32_e32 v87, 31, v99
	s_delay_alu instid0(VALU_DEP_1) | instskip(NEXT) | instid1(VALU_DEP_1)
	v_lshrrev_b32_e32 v87, 27, v87
	v_add_nc_u32_e32 v97, v99, v87
	v_add3_u32 v87, v101, v100, v96
	s_delay_alu instid0(VALU_DEP_2)
	v_ashrrev_i32_e32 v96, 5, v97
.LBB12_769:                             ;   in Loop: Header=BB12_77 Depth=1
	s_or_b32 exec_lo, exec_lo, s42
	s_delay_alu instid0(SALU_CYCLE_1)
	s_and_b32 s21, s21, exec_lo
.LBB12_770:                             ;   in Loop: Header=BB12_77 Depth=1
	s_or_b32 exec_lo, exec_lo, s20
.LBB12_771:                             ;   in Loop: Header=BB12_77 Depth=1
	s_and_saveexec_b32 s15, s21
	s_cbranch_execz .LBB12_780
; %bb.772:                              ;   in Loop: Header=BB12_77 Depth=1
	s_delay_alu instid0(VALU_DEP_1) | instskip(SKIP_1) | instid1(VALU_DEP_1)
	v_ashrrev_i32_e32 v97, 31, v98
	s_mov_b32 s20, exec_lo
	v_lshrrev_b32_e32 v97, 22, v97
	s_delay_alu instid0(VALU_DEP_1) | instskip(NEXT) | instid1(VALU_DEP_1)
	v_add_nc_u32_e32 v97, v98, v97
	v_dual_ashrrev_i32 v102, 10, v97 :: v_dual_ashrrev_i32 v97, 31, v99
	s_delay_alu instid0(VALU_DEP_1) | instskip(NEXT) | instid1(VALU_DEP_1)
	v_dual_sub_nc_u32 v100, v102, v96 :: v_dual_lshrrev_b32 v101, 27, v97
	v_cmpx_lt_i32_e32 0, v100
	s_cbranch_execz .LBB12_776
; %bb.773:                              ;   in Loop: Header=BB12_77 Depth=1
	s_delay_alu instid0(VALU_DEP_2) | instskip(SKIP_1) | instid1(VALU_DEP_1)
	v_dual_add_nc_u32 v97, v99, v101 :: v_dual_lshlrev_b32 v96, 10, v96
	s_mov_b32 s21, 0
	v_and_b32_e32 v97, 0xffffffe0, v97
	s_delay_alu instid0(VALU_DEP_1) | instskip(NEXT) | instid1(VALU_DEP_1)
	v_sub_nc_u32_e32 v97, v99, v97
	v_add3_u32 v96, v87, v97, v96
	s_delay_alu instid0(VALU_DEP_1)
	v_ashrrev_i32_e32 v97, 31, v96
.LBB12_774:                             ;   Parent Loop BB12_77 Depth=1
                                        ; =>  This Inner Loop Header: Depth=2
	s_delay_alu instid0(VALU_DEP_1)
	v_add_nc_u64_e32 v[112:113], v[96:97], v[10:11]
	v_sub_nc_u32_e32 v100, v100, v36
	v_add_nc_u64_e32 v[10:11], v[10:11], v[54:55]
	s_clause 0x1f
	flat_load_u8 v103, v[112:113] th:TH_LOAD_NT
	flat_load_u8 v114, v[112:113] offset:32 th:TH_LOAD_NT
	flat_load_u8 v115, v[112:113] offset:64 th:TH_LOAD_NT
	flat_load_u8 v44, v[112:113] offset:96 th:TH_LOAD_NT
	flat_load_u8 v45, v[112:113] offset:128 th:TH_LOAD_NT
	flat_load_u8 v46, v[112:113] offset:160 th:TH_LOAD_NT
	flat_load_u8 v47, v[112:113] offset:192 th:TH_LOAD_NT
	flat_load_u8 v56, v[112:113] offset:224 th:TH_LOAD_NT
	flat_load_u8 v57, v[112:113] offset:256 th:TH_LOAD_NT
	flat_load_u8 v58, v[112:113] offset:288 th:TH_LOAD_NT
	flat_load_u8 v59, v[112:113] offset:320 th:TH_LOAD_NT
	flat_load_u8 v60, v[112:113] offset:352 th:TH_LOAD_NT
	flat_load_u8 v61, v[112:113] offset:384 th:TH_LOAD_NT
	flat_load_u8 v62, v[112:113] offset:416 th:TH_LOAD_NT
	flat_load_u8 v63, v[112:113] offset:448 th:TH_LOAD_NT
	flat_load_u8 v72, v[112:113] offset:480 th:TH_LOAD_NT
	flat_load_u8 v73, v[112:113] offset:512 th:TH_LOAD_NT
	flat_load_u8 v74, v[112:113] offset:544 th:TH_LOAD_NT
	flat_load_u8 v75, v[112:113] offset:576 th:TH_LOAD_NT
	flat_load_u8 v76, v[112:113] offset:608 th:TH_LOAD_NT
	flat_load_u8 v77, v[112:113] offset:640 th:TH_LOAD_NT
	flat_load_u8 v78, v[112:113] offset:672 th:TH_LOAD_NT
	flat_load_u8 v79, v[112:113] offset:704 th:TH_LOAD_NT
	flat_load_u8 v88, v[112:113] offset:736 th:TH_LOAD_NT
	flat_load_u8 v89, v[112:113] offset:768 th:TH_LOAD_NT
	flat_load_u8 v90, v[112:113] offset:800 th:TH_LOAD_NT
	flat_load_u8 v91, v[112:113] offset:832 th:TH_LOAD_NT
	flat_load_u8 v92, v[112:113] offset:864 th:TH_LOAD_NT
	flat_load_u8 v93, v[112:113] offset:896 th:TH_LOAD_NT
	flat_load_u8 v94, v[112:113] offset:928 th:TH_LOAD_NT
	flat_load_u8 v95, v[112:113] offset:960 th:TH_LOAD_NT
	flat_load_u8 v104, v[112:113] offset:992 th:TH_LOAD_NT
	s_wait_xcnt 0x0
	v_add_nc_u64_e32 v[112:113], v[96:97], v[12:13]
	v_add_nc_u64_e32 v[12:13], v[12:13], v[54:55]
	v_cmp_gt_i32_e32 vcc_lo, 1, v100
	s_wait_loadcnt_dscnt 0x1f1f
	flat_store_b8 v[112:113], v103 th:TH_STORE_NT
	s_wait_loadcnt_dscnt 0x1e1f
	flat_store_b8 v[112:113], v114 offset:32 th:TH_STORE_NT
	s_wait_loadcnt_dscnt 0x1d1f
	flat_store_b8 v[112:113], v115 offset:64 th:TH_STORE_NT
	s_wait_loadcnt_dscnt 0x1c1f
	flat_store_b8 v[112:113], v44 offset:96 th:TH_STORE_NT
	s_wait_loadcnt_dscnt 0x1b1f
	flat_store_b8 v[112:113], v45 offset:128 th:TH_STORE_NT
	s_wait_loadcnt_dscnt 0x1a1f
	flat_store_b8 v[112:113], v46 offset:160 th:TH_STORE_NT
	s_wait_loadcnt_dscnt 0x191f
	flat_store_b8 v[112:113], v47 offset:192 th:TH_STORE_NT
	s_wait_loadcnt_dscnt 0x181f
	flat_store_b8 v[112:113], v56 offset:224 th:TH_STORE_NT
	s_wait_loadcnt_dscnt 0x171f
	flat_store_b8 v[112:113], v57 offset:256 th:TH_STORE_NT
	s_wait_loadcnt_dscnt 0x161f
	flat_store_b8 v[112:113], v58 offset:288 th:TH_STORE_NT
	s_wait_loadcnt_dscnt 0x151f
	flat_store_b8 v[112:113], v59 offset:320 th:TH_STORE_NT
	s_wait_loadcnt_dscnt 0x141f
	flat_store_b8 v[112:113], v60 offset:352 th:TH_STORE_NT
	s_wait_loadcnt_dscnt 0x131f
	flat_store_b8 v[112:113], v61 offset:384 th:TH_STORE_NT
	s_wait_loadcnt_dscnt 0x121f
	flat_store_b8 v[112:113], v62 offset:416 th:TH_STORE_NT
	s_wait_loadcnt_dscnt 0x111f
	flat_store_b8 v[112:113], v63 offset:448 th:TH_STORE_NT
	s_wait_loadcnt_dscnt 0x101f
	flat_store_b8 v[112:113], v72 offset:480 th:TH_STORE_NT
	s_wait_loadcnt_dscnt 0xf1f
	flat_store_b8 v[112:113], v73 offset:512 th:TH_STORE_NT
	s_wait_loadcnt_dscnt 0xe1f
	flat_store_b8 v[112:113], v74 offset:544 th:TH_STORE_NT
	s_wait_loadcnt_dscnt 0xd1f
	flat_store_b8 v[112:113], v75 offset:576 th:TH_STORE_NT
	s_wait_loadcnt_dscnt 0xc1f
	flat_store_b8 v[112:113], v76 offset:608 th:TH_STORE_NT
	s_wait_loadcnt_dscnt 0xb1f
	flat_store_b8 v[112:113], v77 offset:640 th:TH_STORE_NT
	s_wait_loadcnt_dscnt 0xa1f
	flat_store_b8 v[112:113], v78 offset:672 th:TH_STORE_NT
	s_wait_loadcnt_dscnt 0x91f
	flat_store_b8 v[112:113], v79 offset:704 th:TH_STORE_NT
	s_wait_loadcnt_dscnt 0x81f
	flat_store_b8 v[112:113], v88 offset:736 th:TH_STORE_NT
	s_wait_loadcnt_dscnt 0x71f
	flat_store_b8 v[112:113], v89 offset:768 th:TH_STORE_NT
	s_wait_loadcnt_dscnt 0x61f
	flat_store_b8 v[112:113], v90 offset:800 th:TH_STORE_NT
	s_wait_loadcnt_dscnt 0x51f
	flat_store_b8 v[112:113], v91 offset:832 th:TH_STORE_NT
	s_wait_loadcnt_dscnt 0x41f
	flat_store_b8 v[112:113], v92 offset:864 th:TH_STORE_NT
	s_wait_loadcnt_dscnt 0x31f
	flat_store_b8 v[112:113], v93 offset:896 th:TH_STORE_NT
	s_wait_loadcnt_dscnt 0x21f
	flat_store_b8 v[112:113], v94 offset:928 th:TH_STORE_NT
	s_wait_loadcnt_dscnt 0x11f
	flat_store_b8 v[112:113], v95 offset:960 th:TH_STORE_NT
	s_wait_loadcnt_dscnt 0x1f
	flat_store_b8 v[112:113], v104 offset:992 th:TH_STORE_NT
	s_or_b32 s21, vcc_lo, s21
	s_wait_xcnt 0x0
	s_and_not1_b32 exec_lo, exec_lo, s21
	s_cbranch_execnz .LBB12_774
; %bb.775:                              ;   in Loop: Header=BB12_77 Depth=1
	s_or_b32 exec_lo, exec_lo, s21
.LBB12_776:                             ;   in Loop: Header=BB12_77 Depth=1
	s_delay_alu instid0(SALU_CYCLE_1) | instskip(SKIP_1) | instid1(VALU_DEP_1)
	s_or_b32 exec_lo, exec_lo, s20
	v_lshlrev_b32_e32 v10, 10, v102
	v_cmp_ne_u32_e32 vcc_lo, v98, v10
	s_and_b32 exec_lo, exec_lo, vcc_lo
	s_cbranch_execz .LBB12_780
; %bb.777:                              ;   in Loop: Header=BB12_77 Depth=1
	v_dual_add_nc_u32 v11, v99, v101 :: v_dual_lshlrev_b32 v12, 5, v100
	s_delay_alu instid0(VALU_DEP_1) | instskip(NEXT) | instid1(VALU_DEP_1)
	v_and_b32_e32 v11, 0xffffffe0, v11
	v_sub_nc_u32_e32 v11, v99, v11
	s_delay_alu instid0(VALU_DEP_1) | instskip(NEXT) | instid1(VALU_DEP_1)
	v_sub_nc_u32_e32 v11, v11, v12
	v_add_nc_u32_e32 v12, v10, v11
	s_delay_alu instid0(VALU_DEP_1) | instskip(NEXT) | instid1(VALU_DEP_1)
	v_sub_nc_u32_e32 v96, v98, v12
	v_cmp_lt_i32_e32 vcc_lo, 0, v96
	s_and_b32 exec_lo, exec_lo, vcc_lo
	s_cbranch_execz .LBB12_780
; %bb.778:                              ;   in Loop: Header=BB12_77 Depth=1
	s_trap 2
	ds_load_b64 v[10:11], v0
	v_add_nc_u32_e32 v12, v12, v87
	s_mov_b32 s20, 0
	s_delay_alu instid0(VALU_DEP_1)
	v_ashrrev_i32_e32 v13, 31, v12
.LBB12_779:                             ;   Parent Loop BB12_77 Depth=1
                                        ; =>  This Inner Loop Header: Depth=2
	s_wait_dscnt 0x0
	s_delay_alu instid0(VALU_DEP_1) | instskip(SKIP_2) | instid1(VALU_DEP_2)
	v_add_nc_u64_e32 v[98:99], v[10:11], v[12:13]
	v_sub_nc_u32_e32 v96, v96, v1
	v_add_nc_u64_e32 v[12:13], v[12:13], v[80:81]
	v_cmp_gt_i32_e32 vcc_lo, 1, v96
	flat_load_u8 v87, v[98:99] th:TH_LOAD_NT
	s_or_b32 s20, vcc_lo, s20
	s_wait_loadcnt_dscnt 0x0
	flat_store_b8 v[98:99], v87 th:TH_STORE_NT
	s_wait_xcnt 0x0
	s_and_not1_b32 exec_lo, exec_lo, s20
	s_cbranch_execnz .LBB12_779
.LBB12_780:                             ;   in Loop: Header=BB12_77 Depth=1
	s_or_b32 exec_lo, exec_lo, s15
	v_cmp_lt_i32_e64 s15, 0, v34
	s_and_saveexec_b32 s20, s3
	s_cbranch_execnz .LBB12_786
.LBB12_781:                             ;   in Loop: Header=BB12_77 Depth=1
	s_or_b32 exec_lo, exec_lo, s20
                                        ; implicit-def: $vgpr10
	s_and_saveexec_b32 s20, s12
	s_delay_alu instid0(SALU_CYCLE_1)
	s_xor_b32 s20, exec_lo, s20
	s_cbranch_execz .LBB12_823
.LBB12_782:                             ;   in Loop: Header=BB12_77 Depth=1
	v_and_b32_e32 v10, 16, v116
	s_delay_alu instid0(VALU_DEP_1) | instskip(SKIP_2) | instid1(SALU_CYCLE_1)
	v_cmp_ne_u32_e32 vcc_lo, 0, v10
	v_and_b32_e32 v10, 16, v116
	s_and_b32 s21, vcc_lo, s15
	s_and_saveexec_b32 s15, s21
	s_cbranch_execz .LBB12_784
; %bb.783:                              ;   in Loop: Header=BB12_77 Depth=1
	v_mov_b32_e32 v10, 1
	global_wb scope:SCOPE_SYS
	s_wait_storecnt 0x0
	s_wait_loadcnt_dscnt 0x0
	global_inv scope:SCOPE_SYS
.LBB12_784:                             ;   in Loop: Header=BB12_77 Depth=1
	s_or_b32 exec_lo, exec_lo, s15
	s_and_not1_saveexec_b32 s15, s20
	s_cbranch_execz .LBB12_891
	s_branch .LBB12_824
.LBB12_785:                             ;   in Loop: Header=BB12_77 Depth=1
	s_mov_b32 s15, 0
	s_and_saveexec_b32 s20, s3
	s_cbranch_execz .LBB12_781
.LBB12_786:                             ;   in Loop: Header=BB12_77 Depth=1
	s_and_saveexec_b32 s21, s4
	s_delay_alu instid0(SALU_CYCLE_1)
	s_xor_b32 s21, exec_lo, s21
	s_cbranch_execz .LBB12_820
; %bb.787:                              ;   in Loop: Header=BB12_77 Depth=1
	s_and_saveexec_b32 s42, s7
	s_cbranch_execz .LBB12_819
; %bb.788:                              ;   in Loop: Header=BB12_77 Depth=1
	s_mov_b32 s44, exec_lo
	s_mov_b32 s43, exec_lo
	v_mbcnt_lo_u32_b32 v10, s44, 0
	global_wb scope:SCOPE_DEV
	s_wait_storecnt 0x0
	s_wait_loadcnt_dscnt 0x0
	global_inv scope:SCOPE_DEV
	v_cmpx_eq_u32_e32 0, v10
	s_cbranch_execz .LBB12_790
; %bb.789:                              ;   in Loop: Header=BB12_77 Depth=1
	s_bcnt1_i32_b32 s44, s44
	s_delay_alu instid0(SALU_CYCLE_1)
	v_mov_b32_e32 v34, s44
	s_wait_loadcnt 0x0
	ds_add_u64 v0, v[34:35]
	s_trap 2
.LBB12_790:                             ;   in Loop: Header=BB12_77 Depth=1
	s_or_b32 exec_lo, exec_lo, s43
	s_trap 2
	ds_load_b64 v[10:11], v0
	s_wait_dscnt 0x0
	v_add_nc_u64_e32 v[26:27], v[26:27], v[36:37]
	s_mov_b32 s43, exec_lo
	s_delay_alu instid0(VALU_DEP_1)
	v_cmpx_lt_u64_e64 v[10:11], v[26:27]
	s_cbranch_execz .LBB12_818
; %bb.791:                              ;   in Loop: Header=BB12_77 Depth=1
	s_mov_b32 s44, 0
	s_mov_b32 s47, 0
                                        ; implicit-def: $sgpr45
                                        ; implicit-def: $sgpr46
	s_branch .LBB12_793
.LBB12_792:                             ;   in Loop: Header=BB12_793 Depth=2
	s_or_b32 exec_lo, exec_lo, s57
	s_delay_alu instid0(SALU_CYCLE_1) | instskip(NEXT) | instid1(SALU_CYCLE_1)
	s_and_b32 s56, exec_lo, s58
	s_or_b32 s44, s56, s44
	s_and_not1_b32 s45, s45, exec_lo
	s_and_b32 s56, s46, exec_lo
	s_delay_alu instid0(SALU_CYCLE_1)
	s_or_b32 s45, s45, s56
	s_and_not1_b32 exec_lo, exec_lo, s44
	s_cbranch_execz .LBB12_816
.LBB12_793:                             ;   Parent Loop BB12_77 Depth=1
                                        ; =>  This Inner Loop Header: Depth=2
	s_add_co_i32 s47, s47, 1
	s_delay_alu instid0(SALU_CYCLE_1) | instskip(SKIP_1) | instid1(SALU_CYCLE_1)
	s_cmp_lg_u32 s47, 0x2710
	s_cselect_b32 s56, -1, 0
	s_and_b32 vcc_lo, exec_lo, s56
	s_cbranch_vccz .LBB12_795
; %bb.794:                              ;   in Loop: Header=BB12_793 Depth=2
	s_mov_b32 s58, -1
	s_or_b32 s46, s46, exec_lo
	s_and_saveexec_b32 s57, s56
	s_cbranch_execz .LBB12_792
	s_branch .LBB12_796
.LBB12_795:                             ;   in Loop: Header=BB12_793 Depth=2
	s_trap 2
	ds_load_b64 v[10:11], v0
	s_and_not1_b32 s56, s56, exec_lo
	s_mov_b32 s47, 0
	s_wait_loadcnt_dscnt 0x0
	flat_load_b32 v10, v[10:11] scope:SCOPE_SYS
	s_wait_loadcnt_dscnt 0x0
	global_inv scope:SCOPE_SYS
	v_cmp_eq_u32_e32 vcc_lo, 0, v10
	s_and_b32 s57, vcc_lo, exec_lo
	s_delay_alu instid0(SALU_CYCLE_1)
	s_or_b32 s56, s56, s57
	s_mov_b32 s58, -1
	s_or_b32 s46, s46, exec_lo
	s_and_saveexec_b32 s57, s56
	s_cbranch_execz .LBB12_792
.LBB12_796:                             ;   in Loop: Header=BB12_793 Depth=2
	s_sleep 1
	s_trap 2
	ds_load_b64 v[10:11], v0
	s_wait_dscnt 0x0
	s_and_not1_b32 s46, s46, exec_lo
	v_cmp_ge_u64_e32 vcc_lo, v[10:11], v[26:27]
	s_or_not1_b32 s58, vcc_lo, exec_lo
	s_branch .LBB12_792
.LBB12_797:                             ;   in Loop: Header=BB12_77 Depth=1
	s_or_b32 exec_lo, exec_lo, s43
	s_and_saveexec_b32 s43, s44
	s_delay_alu instid0(SALU_CYCLE_1)
	s_xor_b32 s43, exec_lo, s43
	s_cbranch_execz .LBB12_799
; %bb.798:                              ;   in Loop: Header=BB12_77 Depth=1
	ds_store_b32 v0, v118
	s_trap 2
.LBB12_799:                             ;   in Loop: Header=BB12_77 Depth=1
	s_or_b32 exec_lo, exec_lo, s42
	;;#ASMSTART
	s_wakeup
	;;#ASMEND
.LBB12_800:                             ;   in Loop: Header=BB12_77 Depth=1
	s_or_b32 exec_lo, exec_lo, s40
.LBB12_801:                             ;   in Loop: Header=BB12_77 Depth=1
	s_and_not1_saveexec_b32 s21, s21
	s_cbranch_execz .LBB12_803
; %bb.802:                              ;   in Loop: Header=BB12_77 Depth=1
	global_wb scope:SCOPE_DEV
	s_wait_storecnt 0x0
	s_wait_loadcnt_dscnt 0x0
	global_inv scope:SCOPE_DEV
	s_barrier_signal -1
	s_barrier_wait -1
.LBB12_803:                             ;   in Loop: Header=BB12_77 Depth=1
	s_or_b32 exec_lo, exec_lo, s21
	s_delay_alu instid0(SALU_CYCLE_1) | instskip(SKIP_1) | instid1(SALU_CYCLE_1)
	s_or_b32 exec_lo, exec_lo, s20
	s_and_saveexec_b32 s20, s12
	s_xor_b32 s20, exec_lo, s20
	s_cbranch_execnz .LBB12_729
.LBB12_804:                             ;   in Loop: Header=BB12_77 Depth=1
	s_and_not1_saveexec_b32 s16, s20
	s_cbranch_execz .LBB12_842
.LBB12_805:                             ;   in Loop: Header=BB12_77 Depth=1
	s_and_saveexec_b32 s20, s4
	s_delay_alu instid0(SALU_CYCLE_1)
	s_xor_b32 s20, exec_lo, s20
	s_cbranch_execz .LBB12_839
; %bb.806:                              ;   in Loop: Header=BB12_77 Depth=1
	s_and_saveexec_b32 s21, s7
	s_cbranch_execz .LBB12_838
; %bb.807:                              ;   in Loop: Header=BB12_77 Depth=1
	s_mov_b32 s42, exec_lo
	s_mov_b32 s40, exec_lo
	v_mbcnt_lo_u32_b32 v10, s42, 0
	;;#ASMSTART
	s_waitcnt lgkmcnt(0) vmcnt(0)
	;;#ASMEND
	s_delay_alu instid0(VALU_DEP_1)
	v_cmpx_eq_u32_e32 0, v10
	s_cbranch_execz .LBB12_809
; %bb.808:                              ;   in Loop: Header=BB12_77 Depth=1
	s_bcnt1_i32_b32 s42, s42
	s_delay_alu instid0(SALU_CYCLE_1)
	v_mov_b32_e32 v34, s42
	s_wait_storecnt 0x0
	s_wait_loadcnt_dscnt 0x0
	ds_add_u64 v0, v[34:35]
	s_trap 2
.LBB12_809:                             ;   in Loop: Header=BB12_77 Depth=1
	s_or_b32 exec_lo, exec_lo, s40
	s_trap 2
	ds_load_b64 v[10:11], v0
	s_wait_dscnt 0x0
	v_add_nc_u64_e32 v[26:27], v[26:27], v[36:37]
	s_mov_b32 s40, exec_lo
	s_delay_alu instid0(VALU_DEP_1)
	v_cmpx_lt_u64_e64 v[10:11], v[26:27]
	s_cbranch_execz .LBB12_837
; %bb.810:                              ;   in Loop: Header=BB12_77 Depth=1
	s_mov_b32 s42, 0
	s_mov_b32 s45, 0
                                        ; implicit-def: $sgpr43
                                        ; implicit-def: $sgpr44
	s_branch .LBB12_812
.LBB12_811:                             ;   in Loop: Header=BB12_812 Depth=2
	s_or_b32 exec_lo, exec_lo, s47
	s_delay_alu instid0(SALU_CYCLE_1) | instskip(NEXT) | instid1(SALU_CYCLE_1)
	s_and_b32 s46, exec_lo, s56
	s_or_b32 s42, s46, s42
	s_and_not1_b32 s43, s43, exec_lo
	s_and_b32 s46, s44, exec_lo
	s_delay_alu instid0(SALU_CYCLE_1)
	s_or_b32 s43, s43, s46
	s_and_not1_b32 exec_lo, exec_lo, s42
	s_cbranch_execz .LBB12_835
.LBB12_812:                             ;   Parent Loop BB12_77 Depth=1
                                        ; =>  This Inner Loop Header: Depth=2
	s_add_co_i32 s45, s45, 1
	s_delay_alu instid0(SALU_CYCLE_1) | instskip(SKIP_1) | instid1(SALU_CYCLE_1)
	s_cmp_lg_u32 s45, 0x2710
	s_cselect_b32 s46, -1, 0
	s_and_b32 vcc_lo, exec_lo, s46
	s_cbranch_vccz .LBB12_814
; %bb.813:                              ;   in Loop: Header=BB12_812 Depth=2
	s_mov_b32 s56, -1
	s_or_b32 s44, s44, exec_lo
	s_and_saveexec_b32 s47, s46
	s_cbranch_execz .LBB12_811
	s_branch .LBB12_815
.LBB12_814:                             ;   in Loop: Header=BB12_812 Depth=2
	s_trap 2
	ds_load_b64 v[10:11], v0
	s_and_not1_b32 s46, s46, exec_lo
	s_mov_b32 s45, 0
	s_wait_storecnt 0x0
	s_wait_loadcnt_dscnt 0x0
	flat_load_b32 v10, v[10:11] scope:SCOPE_SYS
	s_wait_loadcnt_dscnt 0x0
	global_inv scope:SCOPE_SYS
	v_cmp_eq_u32_e32 vcc_lo, 0, v10
	s_and_b32 s47, vcc_lo, exec_lo
	s_delay_alu instid0(SALU_CYCLE_1)
	s_or_b32 s46, s46, s47
	s_mov_b32 s56, -1
	s_or_b32 s44, s44, exec_lo
	s_and_saveexec_b32 s47, s46
	s_cbranch_execz .LBB12_811
.LBB12_815:                             ;   in Loop: Header=BB12_812 Depth=2
	s_sleep 1
	s_trap 2
	ds_load_b64 v[10:11], v0
	s_wait_dscnt 0x0
	s_and_not1_b32 s44, s44, exec_lo
	v_cmp_ge_u64_e32 vcc_lo, v[10:11], v[26:27]
	s_or_not1_b32 s56, vcc_lo, exec_lo
	s_branch .LBB12_811
.LBB12_816:                             ;   in Loop: Header=BB12_77 Depth=1
	s_or_b32 exec_lo, exec_lo, s44
	s_and_saveexec_b32 s44, s45
	s_delay_alu instid0(SALU_CYCLE_1)
	s_xor_b32 s44, exec_lo, s44
	s_cbranch_execz .LBB12_818
; %bb.817:                              ;   in Loop: Header=BB12_77 Depth=1
	ds_store_b32 v0, v118
	s_trap 2
.LBB12_818:                             ;   in Loop: Header=BB12_77 Depth=1
	s_or_b32 exec_lo, exec_lo, s43
	;;#ASMSTART
	s_wakeup
	;;#ASMEND
.LBB12_819:                             ;   in Loop: Header=BB12_77 Depth=1
	s_or_b32 exec_lo, exec_lo, s42
.LBB12_820:                             ;   in Loop: Header=BB12_77 Depth=1
	s_and_not1_saveexec_b32 s21, s21
	s_cbranch_execz .LBB12_822
; %bb.821:                              ;   in Loop: Header=BB12_77 Depth=1
	global_wb scope:SCOPE_DEV
	s_wait_storecnt 0x0
	s_wait_loadcnt_dscnt 0x0
	global_inv scope:SCOPE_DEV
	s_barrier_signal -1
	s_barrier_wait -1
.LBB12_822:                             ;   in Loop: Header=BB12_77 Depth=1
	s_or_b32 exec_lo, exec_lo, s21
	s_delay_alu instid0(SALU_CYCLE_1) | instskip(SKIP_1) | instid1(SALU_CYCLE_1)
	s_or_b32 exec_lo, exec_lo, s20
                                        ; implicit-def: $vgpr10
	s_and_saveexec_b32 s20, s12
	s_xor_b32 s20, exec_lo, s20
	s_cbranch_execnz .LBB12_782
.LBB12_823:                             ;   in Loop: Header=BB12_77 Depth=1
	s_and_not1_saveexec_b32 s15, s20
	s_cbranch_execz .LBB12_891
.LBB12_824:                             ;   in Loop: Header=BB12_77 Depth=1
	s_and_saveexec_b32 s20, s4
	s_delay_alu instid0(SALU_CYCLE_1)
	s_xor_b32 s20, exec_lo, s20
	s_cbranch_execz .LBB12_888
; %bb.825:                              ;   in Loop: Header=BB12_77 Depth=1
	s_and_saveexec_b32 s21, s7
	s_cbranch_execz .LBB12_887
; %bb.826:                              ;   in Loop: Header=BB12_77 Depth=1
	s_mov_b32 s43, exec_lo
	s_mov_b32 s42, exec_lo
	v_mbcnt_lo_u32_b32 v10, s43, 0
	;;#ASMSTART
	s_waitcnt lgkmcnt(0) vmcnt(0)
	;;#ASMEND
	s_delay_alu instid0(VALU_DEP_1)
	v_cmpx_eq_u32_e32 0, v10
	s_cbranch_execz .LBB12_828
; %bb.827:                              ;   in Loop: Header=BB12_77 Depth=1
	s_bcnt1_i32_b32 s43, s43
	s_delay_alu instid0(SALU_CYCLE_1)
	v_mov_b32_e32 v34, s43
	s_wait_storecnt 0x0
	s_wait_loadcnt_dscnt 0x0
	ds_add_u64 v0, v[34:35]
	s_trap 2
.LBB12_828:                             ;   in Loop: Header=BB12_77 Depth=1
	s_or_b32 exec_lo, exec_lo, s42
	s_trap 2
	ds_load_b64 v[10:11], v0
	s_wait_dscnt 0x0
	v_add_nc_u64_e32 v[26:27], v[26:27], v[36:37]
	s_mov_b32 s42, exec_lo
	s_delay_alu instid0(VALU_DEP_1)
	v_cmpx_lt_u64_e64 v[10:11], v[26:27]
	s_cbranch_execz .LBB12_886
; %bb.829:                              ;   in Loop: Header=BB12_77 Depth=1
	s_mov_b32 s43, 0
	s_mov_b32 s46, 0
                                        ; implicit-def: $sgpr44
                                        ; implicit-def: $sgpr45
	s_branch .LBB12_831
.LBB12_830:                             ;   in Loop: Header=BB12_831 Depth=2
	s_or_b32 exec_lo, exec_lo, s56
	s_delay_alu instid0(SALU_CYCLE_1) | instskip(NEXT) | instid1(SALU_CYCLE_1)
	s_and_b32 s47, exec_lo, s57
	s_or_b32 s43, s47, s43
	s_and_not1_b32 s44, s44, exec_lo
	s_and_b32 s47, s45, exec_lo
	s_delay_alu instid0(SALU_CYCLE_1)
	s_or_b32 s44, s44, s47
	s_and_not1_b32 exec_lo, exec_lo, s43
	s_cbranch_execz .LBB12_884
.LBB12_831:                             ;   Parent Loop BB12_77 Depth=1
                                        ; =>  This Inner Loop Header: Depth=2
	s_add_co_i32 s46, s46, 1
	s_delay_alu instid0(SALU_CYCLE_1) | instskip(SKIP_1) | instid1(SALU_CYCLE_1)
	s_cmp_lg_u32 s46, 0x2710
	s_cselect_b32 s47, -1, 0
	s_and_b32 vcc_lo, exec_lo, s47
	s_cbranch_vccz .LBB12_833
; %bb.832:                              ;   in Loop: Header=BB12_831 Depth=2
	s_mov_b32 s57, -1
	s_or_b32 s45, s45, exec_lo
	s_and_saveexec_b32 s56, s47
	s_cbranch_execz .LBB12_830
	s_branch .LBB12_834
.LBB12_833:                             ;   in Loop: Header=BB12_831 Depth=2
	s_trap 2
	ds_load_b64 v[10:11], v0
	s_and_not1_b32 s47, s47, exec_lo
	s_mov_b32 s46, 0
	s_wait_storecnt 0x0
	s_wait_loadcnt_dscnt 0x0
	flat_load_b32 v10, v[10:11] scope:SCOPE_SYS
	s_wait_loadcnt_dscnt 0x0
	global_inv scope:SCOPE_SYS
	v_cmp_eq_u32_e32 vcc_lo, 0, v10
	s_and_b32 s56, vcc_lo, exec_lo
	s_delay_alu instid0(SALU_CYCLE_1)
	s_or_b32 s47, s47, s56
	s_mov_b32 s57, -1
	s_or_b32 s45, s45, exec_lo
	s_and_saveexec_b32 s56, s47
	s_cbranch_execz .LBB12_830
.LBB12_834:                             ;   in Loop: Header=BB12_831 Depth=2
	s_sleep 1
	s_trap 2
	ds_load_b64 v[10:11], v0
	s_wait_dscnt 0x0
	s_and_not1_b32 s45, s45, exec_lo
	v_cmp_ge_u64_e32 vcc_lo, v[10:11], v[26:27]
	s_or_not1_b32 s57, vcc_lo, exec_lo
	s_branch .LBB12_830
.LBB12_835:                             ;   in Loop: Header=BB12_77 Depth=1
	s_or_b32 exec_lo, exec_lo, s42
	s_and_saveexec_b32 s42, s43
	s_delay_alu instid0(SALU_CYCLE_1)
	s_xor_b32 s42, exec_lo, s42
	s_cbranch_execz .LBB12_837
; %bb.836:                              ;   in Loop: Header=BB12_77 Depth=1
	ds_store_b32 v0, v118
	s_trap 2
.LBB12_837:                             ;   in Loop: Header=BB12_77 Depth=1
	s_or_b32 exec_lo, exec_lo, s40
	;;#ASMSTART
	s_wakeup
	;;#ASMEND
.LBB12_838:                             ;   in Loop: Header=BB12_77 Depth=1
	s_or_b32 exec_lo, exec_lo, s21
.LBB12_839:                             ;   in Loop: Header=BB12_77 Depth=1
	s_and_not1_saveexec_b32 s20, s20
	s_cbranch_execz .LBB12_841
; %bb.840:                              ;   in Loop: Header=BB12_77 Depth=1
	;;#ASMSTART
	s_waitcnt lgkmcnt(0) vmcnt(0)
	;;#ASMEND
	s_barrier_signal -1
	s_barrier_wait -1
.LBB12_841:                             ;   in Loop: Header=BB12_77 Depth=1
	s_or_b32 exec_lo, exec_lo, s20
.LBB12_842:                             ;   in Loop: Header=BB12_77 Depth=1
	s_delay_alu instid0(SALU_CYCLE_1) | instskip(SKIP_2) | instid1(VALU_DEP_1)
	s_or_b32 exec_lo, exec_lo, s16
	v_and_b32_e32 v10, 32, v116
	s_mov_b32 s16, exec_lo
	v_cmpx_ne_u32_e32 0, v10
	s_cbranch_execz .LBB12_844
; %bb.843:                              ;   in Loop: Header=BB12_77 Depth=1
	v_add_nc_u64_e32 v[8:9], 1, v[8:9]
	global_wb scope:SCOPE_SYS
	s_wait_storecnt 0x0
	s_wait_loadcnt_dscnt 0x0
	flat_store_b64 v[20:21], v[8:9] scope:SCOPE_SYS
.LBB12_844:                             ;   in Loop: Header=BB12_77 Depth=1
	s_wait_xcnt 0x0
	s_or_b32 exec_lo, exec_lo, s16
	v_mov_b32_e32 v87, v86
.LBB12_845:                             ;   in Loop: Header=BB12_77 Depth=1
	s_or_b32 exec_lo, exec_lo, s19
	s_mov_b32 s16, s17
	s_and_saveexec_b32 s19, s14
	s_cbranch_execz .LBB12_995
; %bb.846:                              ;   in Loop: Header=BB12_77 Depth=1
	v_and_b32_e32 v10, 4, v116
	s_mov_b32 s20, exec_lo
	s_delay_alu instid0(VALU_DEP_1)
	v_cmpx_ne_u32_e32 0, v10
	s_cbranch_execz .LBB12_856
; %bb.847:                              ;   in Loop: Header=BB12_77 Depth=1
	v_add_nc_u64_e32 v[10:11], 1, v[8:9]
	s_mov_b32 s21, exec_lo
	s_wait_loadcnt_dscnt 0x1
	s_delay_alu instid0(VALU_DEP_1)
	v_cmpx_lt_u64_e64 v[32:33], v[10:11]
	s_cbranch_execz .LBB12_871
; %bb.848:                              ;   in Loop: Header=BB12_77 Depth=1
	v_and_b32_e32 v9, 64, v116
	s_mov_b32 s40, 0
	s_mov_b32 s45, 0
                                        ; implicit-def: $sgpr42
                                        ; implicit-def: $sgpr43
                                        ; implicit-def: $sgpr44
	s_delay_alu instid0(VALU_DEP_1)
	v_cmp_eq_u32_e32 vcc_lo, 0, v9
	s_branch .LBB12_852
.LBB12_849:                             ;   in Loop: Header=BB12_852 Depth=2
	s_wait_loadcnt_dscnt 0x0
	v_cmp_ge_u64_e64 s16, v[32:33], v[10:11]
	s_or_b32 s56, s56, exec_lo
	s_or_not1_b32 s47, s16, exec_lo
.LBB12_850:                             ;   in Loop: Header=BB12_852 Depth=2
	s_or_b32 exec_lo, exec_lo, s58
	s_delay_alu instid0(SALU_CYCLE_1)
	s_and_not1_b32 s16, s44, exec_lo
	s_and_b32 s44, s56, exec_lo
	s_and_not1_b32 s43, s43, exec_lo
	s_and_b32 s47, s47, exec_lo
	s_or_b32 s44, s16, s44
	s_or_b32 s43, s43, s47
.LBB12_851:                             ;   in Loop: Header=BB12_852 Depth=2
	s_or_b32 exec_lo, exec_lo, s46
	s_delay_alu instid0(SALU_CYCLE_1) | instskip(NEXT) | instid1(SALU_CYCLE_1)
	s_and_b32 s16, exec_lo, s43
	s_or_b32 s40, s16, s40
	s_and_not1_b32 s16, s42, exec_lo
	s_and_b32 s42, s44, exec_lo
	s_delay_alu instid0(SALU_CYCLE_1)
	s_or_b32 s42, s16, s42
	s_and_not1_b32 exec_lo, exec_lo, s40
	s_cbranch_execz .LBB12_868
.LBB12_852:                             ;   Parent Loop BB12_77 Depth=1
                                        ; =>  This Inner Loop Header: Depth=2
	s_sleep 1
	s_wait_loadcnt_dscnt 0x0
	flat_load_b64 v[32:33], v[20:21] scope:SCOPE_SYS
	s_or_b32 s44, s44, exec_lo
	s_or_b32 s43, s43, exec_lo
                                        ; implicit-def: $vgpr9
	s_wait_xcnt 0x0
	s_and_saveexec_b32 s46, vcc_lo
	s_cbranch_execz .LBB12_851
; %bb.853:                              ;   in Loop: Header=BB12_852 Depth=2
	s_cmp_lt_i32 s45, 0x270f
	s_mov_b32 s47, -1
	s_cselect_b32 s57, -1, 0
	s_cmp_gt_i32 s45, 0x270e
	s_cbranch_scc0 .LBB12_855
; %bb.854:                              ;   in Loop: Header=BB12_852 Depth=2
	s_trap 2
	ds_load_b64 v[12:13], v0
	s_and_not1_b32 s45, s57, exec_lo
	s_mov_b32 s56, 0
	s_wait_storecnt 0x0
	s_wait_loadcnt_dscnt 0x0
	flat_load_b32 v9, v[12:13] scope:SCOPE_SYS
	s_wait_loadcnt_dscnt 0x0
	global_inv scope:SCOPE_SYS
	v_cmp_eq_u32_e64 s16, 0, v9
	s_and_b32 s16, s16, exec_lo
	s_delay_alu instid0(SALU_CYCLE_1)
	s_or_b32 s57, s45, s16
	s_mov_b32 s45, 0
	s_and_saveexec_b32 s58, s57
	s_cbranch_execz .LBB12_850
	s_branch .LBB12_849
.LBB12_855:                             ;   in Loop: Header=BB12_852 Depth=2
	s_add_co_i32 s45, s45, 1
	s_mov_b32 s56, -1
                                        ; implicit-def: $vgpr9
	s_and_saveexec_b32 s58, s57
	s_cbranch_execz .LBB12_850
	s_branch .LBB12_849
.LBB12_856:                             ;   in Loop: Header=BB12_77 Depth=1
	s_or_b32 exec_lo, exec_lo, s20
	s_and_saveexec_b32 s16, s3
	s_cbranch_execz .LBB12_880
.LBB12_857:                             ;   in Loop: Header=BB12_77 Depth=1
	s_and_saveexec_b32 s20, s4
	s_delay_alu instid0(SALU_CYCLE_1)
	s_xor_b32 s20, exec_lo, s20
	s_cbranch_execz .LBB12_947
; %bb.858:                              ;   in Loop: Header=BB12_77 Depth=1
	s_and_saveexec_b32 s21, s7
	s_cbranch_execz .LBB12_946
; %bb.859:                              ;   in Loop: Header=BB12_77 Depth=1
	s_mov_b32 s42, exec_lo
	s_mov_b32 s40, exec_lo
	v_mbcnt_lo_u32_b32 v10, s42, 0
	global_wb scope:SCOPE_DEV
	s_wait_storecnt 0x0
	s_wait_loadcnt_dscnt 0x0
	global_inv scope:SCOPE_DEV
	v_cmpx_eq_u32_e32 0, v10
	s_cbranch_execz .LBB12_861
; %bb.860:                              ;   in Loop: Header=BB12_77 Depth=1
	s_bcnt1_i32_b32 s42, s42
	s_delay_alu instid0(SALU_CYCLE_1)
	v_mov_b32_e32 v34, s42
	s_wait_loadcnt 0x0
	ds_add_u64 v0, v[34:35]
	s_trap 2
.LBB12_861:                             ;   in Loop: Header=BB12_77 Depth=1
	s_or_b32 exec_lo, exec_lo, s40
	s_trap 2
	ds_load_b64 v[10:11], v0
	s_wait_dscnt 0x0
	v_add_nc_u64_e32 v[26:27], v[26:27], v[36:37]
	s_mov_b32 s40, exec_lo
	s_delay_alu instid0(VALU_DEP_1)
	v_cmpx_lt_u64_e64 v[10:11], v[26:27]
	s_cbranch_execz .LBB12_945
; %bb.862:                              ;   in Loop: Header=BB12_77 Depth=1
	s_mov_b32 s42, 0
	s_mov_b32 s45, 0
                                        ; implicit-def: $sgpr43
                                        ; implicit-def: $sgpr44
	s_branch .LBB12_864
.LBB12_863:                             ;   in Loop: Header=BB12_864 Depth=2
	s_or_b32 exec_lo, exec_lo, s47
	s_delay_alu instid0(SALU_CYCLE_1) | instskip(NEXT) | instid1(SALU_CYCLE_1)
	s_and_b32 s46, exec_lo, s56
	s_or_b32 s42, s46, s42
	s_and_not1_b32 s43, s43, exec_lo
	s_and_b32 s46, s44, exec_lo
	s_delay_alu instid0(SALU_CYCLE_1)
	s_or_b32 s43, s43, s46
	s_and_not1_b32 exec_lo, exec_lo, s42
	s_cbranch_execz .LBB12_943
.LBB12_864:                             ;   Parent Loop BB12_77 Depth=1
                                        ; =>  This Inner Loop Header: Depth=2
	s_add_co_i32 s45, s45, 1
	s_delay_alu instid0(SALU_CYCLE_1) | instskip(SKIP_1) | instid1(SALU_CYCLE_1)
	s_cmp_lg_u32 s45, 0x2710
	s_cselect_b32 s46, -1, 0
	s_and_b32 vcc_lo, exec_lo, s46
	s_cbranch_vccz .LBB12_866
; %bb.865:                              ;   in Loop: Header=BB12_864 Depth=2
	s_mov_b32 s56, -1
	s_or_b32 s44, s44, exec_lo
	s_and_saveexec_b32 s47, s46
	s_cbranch_execz .LBB12_863
	s_branch .LBB12_867
.LBB12_866:                             ;   in Loop: Header=BB12_864 Depth=2
	s_trap 2
	ds_load_b64 v[10:11], v0
	s_and_not1_b32 s46, s46, exec_lo
	s_mov_b32 s45, 0
	s_wait_loadcnt_dscnt 0x0
	flat_load_b32 v10, v[10:11] scope:SCOPE_SYS
	s_wait_loadcnt_dscnt 0x0
	global_inv scope:SCOPE_SYS
	v_cmp_eq_u32_e32 vcc_lo, 0, v10
	s_and_b32 s47, vcc_lo, exec_lo
	s_delay_alu instid0(SALU_CYCLE_1)
	s_or_b32 s46, s46, s47
	s_mov_b32 s56, -1
	s_or_b32 s44, s44, exec_lo
	s_and_saveexec_b32 s47, s46
	s_cbranch_execz .LBB12_863
.LBB12_867:                             ;   in Loop: Header=BB12_864 Depth=2
	s_sleep 1
	s_trap 2
	ds_load_b64 v[10:11], v0
	s_wait_dscnt 0x0
	s_and_not1_b32 s44, s44, exec_lo
	v_cmp_ge_u64_e32 vcc_lo, v[10:11], v[26:27]
	s_or_not1_b32 s56, vcc_lo, exec_lo
	s_branch .LBB12_863
.LBB12_868:                             ;   in Loop: Header=BB12_77 Depth=1
	s_or_b32 exec_lo, exec_lo, s40
	s_xor_b32 s16, s42, -1
	s_delay_alu instid0(SALU_CYCLE_1) | instskip(NEXT) | instid1(SALU_CYCLE_1)
	s_and_saveexec_b32 s40, s16
	s_xor_b32 s16, exec_lo, s40
	s_cbranch_execz .LBB12_870
; %bb.869:                              ;   in Loop: Header=BB12_77 Depth=1
	v_or_b32_e32 v116, 64, v116
	s_wait_storecnt 0x0
	s_wait_loadcnt_dscnt 0x0
	ds_store_b32 v0, v9
	s_trap 2
.LBB12_870:                             ;   in Loop: Header=BB12_77 Depth=1
	s_or_b32 exec_lo, exec_lo, s16
.LBB12_871:                             ;   in Loop: Header=BB12_77 Depth=1
	s_delay_alu instid0(SALU_CYCLE_1) | instskip(SKIP_4) | instid1(VALU_DEP_2)
	s_or_b32 exec_lo, exec_lo, s21
	v_and_b32_e32 v9, 0x100, v116
	v_and_b32_e32 v34, 7, v8
	s_mov_b32 s16, -1
	;;#ASMSTART
	s_wakeup
	;;#ASMEND
	v_cmp_ne_u32_e32 vcc_lo, 0, v9
                                        ; implicit-def: $vgpr8_vgpr9
	s_and_saveexec_b32 s21, vcc_lo
	s_cbranch_execz .LBB12_875
; %bb.872:                              ;   in Loop: Header=BB12_77 Depth=1
	v_mad_nc_u64_u32 v[12:13], v34, 24, v[6:7]
	flat_load_b32 v8, v[12:13]
	s_wait_loadcnt_dscnt 0x0
	v_cmp_eq_u32_e64 s16, 1, v8
	v_cmp_ne_u32_e32 vcc_lo, 1, v8
                                        ; implicit-def: $vgpr8_vgpr9
	s_wait_xcnt 0x0
	s_and_saveexec_b32 s40, s16
	s_cbranch_execz .LBB12_874
; %bb.873:                              ;   in Loop: Header=BB12_77 Depth=1
	flat_load_b32 v8, v[12:13] offset:4 scope:SCOPE_SYS
	s_wait_loadcnt_dscnt 0x0
	v_ashrrev_i32_e32 v9, 31, v8
.LBB12_874:                             ;   in Loop: Header=BB12_77 Depth=1
	s_wait_xcnt 0x0
	s_or_b32 exec_lo, exec_lo, s40
	s_delay_alu instid0(SALU_CYCLE_1)
	s_or_not1_b32 s16, vcc_lo, exec_lo
.LBB12_875:                             ;   in Loop: Header=BB12_77 Depth=1
	s_or_b32 exec_lo, exec_lo, s21
	s_and_saveexec_b32 s21, s16
; %bb.876:                              ;   in Loop: Header=BB12_77 Depth=1
	v_mul_u64_e32 v[8:9], v[34:35], v[22:23]
; %bb.877:                              ;   in Loop: Header=BB12_77 Depth=1
	s_or_b32 exec_lo, exec_lo, s21
	s_delay_alu instid0(VALU_DEP_1)
	v_add_nc_u64_e32 v[8:9], v[24:25], v[8:9]
	v_and_b32_e32 v12, 0x2000, v116
	s_mov_b32 s16, exec_lo
	ds_store_b64 v0, v[8:9] offset:720
	v_cmpx_ne_u32_e32 0, v12
	s_cbranch_execz .LBB12_879
; %bb.878:                              ;   in Loop: Header=BB12_77 Depth=1
	ds_load_b64 v[8:9], v0 offset:872
	s_wait_dscnt 0x0
	v_add_nc_u64_e32 v[8:9], 1, v[8:9]
	ds_store_b64 v0, v[8:9] offset:872
.LBB12_879:                             ;   in Loop: Header=BB12_77 Depth=1
	s_or_b32 exec_lo, exec_lo, s16
	v_mov_b64_e32 v[8:9], v[10:11]
	s_or_b32 exec_lo, exec_lo, s20
	s_and_saveexec_b32 s16, s3
	s_cbranch_execnz .LBB12_857
.LBB12_880:                             ;   in Loop: Header=BB12_77 Depth=1
	s_or_b32 exec_lo, exec_lo, s16
	s_and_saveexec_b32 s16, s12
	s_delay_alu instid0(SALU_CYCLE_1)
	s_xor_b32 s20, exec_lo, s16
	s_cbranch_execz .LBB12_950
.LBB12_881:                             ;   in Loop: Header=BB12_77 Depth=1
	s_trap 2
	ds_load_b32 v10, v0
	v_sub_nc_u32_e32 v11, v43, v87
	s_wait_dscnt 0x0
	v_readfirstlane_b32 s16, v10
	v_and_b32_e32 v10, 16, v116
	s_delay_alu instid0(VALU_DEP_3) | instskip(SKIP_1) | instid1(VALU_DEP_2)
	v_min_i32_e32 v11, v86, v11
	s_cmp_eq_u32 s16, 0
	v_cmp_ne_u32_e64 s16, 0, v10
	s_delay_alu instid0(VALU_DEP_2) | instskip(SKIP_1) | instid1(SALU_CYCLE_1)
	v_cmp_lt_i32_e32 vcc_lo, 0, v11
	s_cselect_b32 s21, -1, 0
	s_and_b32 s21, vcc_lo, s21
	s_delay_alu instid0(SALU_CYCLE_1) | instskip(NEXT) | instid1(SALU_CYCLE_1)
	s_and_b32 s21, s16, s21
	s_and_saveexec_b32 s16, s21
	s_cbranch_execz .LBB12_883
; %bb.882:                              ;   in Loop: Header=BB12_77 Depth=1
	global_wb scope:SCOPE_SYS
	s_wait_loadcnt 0x0
	s_wait_storecnt 0x0
	global_inv scope:SCOPE_SYS
.LBB12_883:                             ;   in Loop: Header=BB12_77 Depth=1
	s_or_b32 exec_lo, exec_lo, s16
	s_and_not1_saveexec_b32 s16, s20
	s_cbranch_execz .LBB12_994
	s_branch .LBB12_951
.LBB12_884:                             ;   in Loop: Header=BB12_77 Depth=1
	s_or_b32 exec_lo, exec_lo, s43
	s_and_saveexec_b32 s43, s44
	s_delay_alu instid0(SALU_CYCLE_1)
	s_xor_b32 s43, exec_lo, s43
	s_cbranch_execz .LBB12_886
; %bb.885:                              ;   in Loop: Header=BB12_77 Depth=1
	ds_store_b32 v0, v118
	s_trap 2
.LBB12_886:                             ;   in Loop: Header=BB12_77 Depth=1
	s_or_b32 exec_lo, exec_lo, s42
	;;#ASMSTART
	s_wakeup
	;;#ASMEND
.LBB12_887:                             ;   in Loop: Header=BB12_77 Depth=1
	s_or_b32 exec_lo, exec_lo, s21
.LBB12_888:                             ;   in Loop: Header=BB12_77 Depth=1
	s_and_not1_saveexec_b32 s20, s20
	s_cbranch_execz .LBB12_890
; %bb.889:                              ;   in Loop: Header=BB12_77 Depth=1
	;;#ASMSTART
	s_waitcnt lgkmcnt(0) vmcnt(0)
	;;#ASMEND
	s_barrier_signal -1
	s_barrier_wait -1
.LBB12_890:                             ;   in Loop: Header=BB12_77 Depth=1
	s_or_b32 exec_lo, exec_lo, s20
	v_and_b32_e32 v10, 16, v116
.LBB12_891:                             ;   in Loop: Header=BB12_77 Depth=1
	s_or_b32 exec_lo, exec_lo, s15
	s_delay_alu instid0(SALU_CYCLE_1) | instskip(NEXT) | instid1(VALU_DEP_1)
	s_mov_b32 s15, exec_lo
	v_cmpx_ne_u32_e32 0, v10
	s_cbranch_execz .LBB12_895
; %bb.892:                              ;   in Loop: Header=BB12_77 Depth=1
	s_and_saveexec_b32 s20, s6
	s_cbranch_execz .LBB12_894
; %bb.893:                              ;   in Loop: Header=BB12_77 Depth=1
	global_wb scope:SCOPE_SYS
	s_wait_storecnt 0x0
	s_wait_loadcnt_dscnt 0x0
	flat_store_b32 v[28:29], v118 scope:SCOPE_SYS
.LBB12_894:                             ;   in Loop: Header=BB12_77 Depth=1
	s_wait_xcnt 0x0
	s_or_b32 exec_lo, exec_lo, s20
	v_add_nc_u64_e32 v[8:9], 1, v[8:9]
	global_wb scope:SCOPE_SYS
	s_wait_storecnt 0x0
	s_wait_loadcnt_dscnt 0x0
	flat_store_b64 v[20:21], v[8:9] scope:SCOPE_SYS
.LBB12_895:                             ;   in Loop: Header=BB12_77 Depth=1
	s_wait_xcnt 0x0
	s_or_b32 exec_lo, exec_lo, s15
	v_mov_b32_e32 v12, v86
.LBB12_896:                             ;   in Loop: Header=BB12_77 Depth=1
	s_or_b32 exec_lo, exec_lo, s19
	s_mov_b32 s19, s17
	s_mov_b32 s20, s16
	s_and_saveexec_b32 s15, s14
	s_cbranch_execz .LBB12_983
; %bb.897:                              ;   in Loop: Header=BB12_77 Depth=1
	v_sub_nc_u32_e32 v10, v43, v12
	v_and_b32_e32 v11, 8, v116
	s_mov_b32 s19, exec_lo
	s_delay_alu instid0(VALU_DEP_2) | instskip(NEXT) | instid1(VALU_DEP_2)
	v_min_i32_e32 v10, v86, v10
	v_cmpx_ne_u32_e32 0, v11
	s_cbranch_execz .LBB12_907
; %bb.898:                              ;   in Loop: Header=BB12_77 Depth=1
	s_wait_loadcnt_dscnt 0x1
	v_add_nc_u64_e32 v[86:87], 8, v[32:33]
	v_add_nc_u64_e32 v[12:13], 1, v[8:9]
	s_mov_b32 s20, exec_lo
	s_delay_alu instid0(VALU_DEP_1)
	v_cmpx_lt_u64_e64 v[86:87], v[12:13]
	s_cbranch_execz .LBB12_923
; %bb.899:                              ;   in Loop: Header=BB12_77 Depth=1
	v_and_b32_e32 v9, 64, v116
	s_mov_b32 s21, 0
	s_mov_b32 s45, 0
                                        ; implicit-def: $sgpr42
                                        ; implicit-def: $sgpr43
                                        ; implicit-def: $sgpr44
	s_delay_alu instid0(VALU_DEP_1)
	v_cmp_eq_u32_e32 vcc_lo, 0, v9
	s_branch .LBB12_903
.LBB12_900:                             ;   in Loop: Header=BB12_903 Depth=2
	s_wait_loadcnt_dscnt 0x0
	v_add_nc_u64_e32 v[86:87], 8, v[32:33]
	s_or_b32 s56, s56, exec_lo
	s_delay_alu instid0(VALU_DEP_1)
	v_cmp_ge_u64_e64 s14, v[86:87], v[12:13]
	s_or_not1_b32 s47, s14, exec_lo
.LBB12_901:                             ;   in Loop: Header=BB12_903 Depth=2
	s_or_b32 exec_lo, exec_lo, s58
	s_delay_alu instid0(SALU_CYCLE_1)
	s_and_not1_b32 s14, s44, exec_lo
	s_and_b32 s44, s56, exec_lo
	s_and_not1_b32 s43, s43, exec_lo
	s_and_b32 s47, s47, exec_lo
	s_or_b32 s44, s14, s44
	s_or_b32 s43, s43, s47
.LBB12_902:                             ;   in Loop: Header=BB12_903 Depth=2
	s_or_b32 exec_lo, exec_lo, s46
	s_delay_alu instid0(SALU_CYCLE_1) | instskip(NEXT) | instid1(SALU_CYCLE_1)
	s_and_b32 s14, exec_lo, s43
	s_or_b32 s21, s14, s21
	s_and_not1_b32 s14, s42, exec_lo
	s_and_b32 s42, s44, exec_lo
	s_delay_alu instid0(SALU_CYCLE_1)
	s_or_b32 s42, s14, s42
	s_and_not1_b32 exec_lo, exec_lo, s21
	s_cbranch_execz .LBB12_920
.LBB12_903:                             ;   Parent Loop BB12_77 Depth=1
                                        ; =>  This Inner Loop Header: Depth=2
	s_sleep 1
	s_wait_loadcnt_dscnt 0x0
	flat_load_b64 v[32:33], v[20:21] scope:SCOPE_SYS
	s_or_b32 s44, s44, exec_lo
	s_or_b32 s43, s43, exec_lo
                                        ; implicit-def: $vgpr9
	s_wait_xcnt 0x0
	s_and_saveexec_b32 s46, vcc_lo
	s_cbranch_execz .LBB12_902
; %bb.904:                              ;   in Loop: Header=BB12_903 Depth=2
	s_cmp_lt_i32 s45, 0x270f
	s_mov_b32 s47, -1
	s_cselect_b32 s57, -1, 0
	s_cmp_gt_i32 s45, 0x270e
	s_cbranch_scc0 .LBB12_906
; %bb.905:                              ;   in Loop: Header=BB12_903 Depth=2
	s_trap 2
	ds_load_b64 v[86:87], v0
	s_and_not1_b32 s45, s57, exec_lo
	s_mov_b32 s56, 0
	s_wait_storecnt 0x0
	s_wait_loadcnt_dscnt 0x0
	flat_load_b32 v9, v[86:87] scope:SCOPE_SYS
	s_wait_loadcnt_dscnt 0x0
	global_inv scope:SCOPE_SYS
	v_cmp_eq_u32_e64 s14, 0, v9
	s_and_b32 s14, s14, exec_lo
	s_delay_alu instid0(SALU_CYCLE_1)
	s_or_b32 s57, s45, s14
	s_mov_b32 s45, 0
	s_and_saveexec_b32 s58, s57
	s_cbranch_execz .LBB12_901
	s_branch .LBB12_900
.LBB12_906:                             ;   in Loop: Header=BB12_903 Depth=2
	s_add_co_i32 s45, s45, 1
	s_mov_b32 s56, -1
                                        ; implicit-def: $vgpr9
	s_and_saveexec_b32 s58, s57
	s_cbranch_execz .LBB12_901
	s_branch .LBB12_900
.LBB12_907:                             ;   in Loop: Header=BB12_77 Depth=1
	s_or_b32 exec_lo, exec_lo, s19
	s_and_saveexec_b32 s14, s3
	s_cbranch_execnz .LBB12_932
.LBB12_908:                             ;   in Loop: Header=BB12_77 Depth=1
	s_or_b32 exec_lo, exec_lo, s14
                                        ; implicit-def: $vgpr11
	s_and_saveexec_b32 s14, s28
	s_delay_alu instid0(SALU_CYCLE_1)
	s_xor_b32 s14, exec_lo, s14
	s_cbranch_execz .LBB12_976
.LBB12_909:                             ;   in Loop: Header=BB12_77 Depth=1
	s_and_saveexec_b32 s19, s4
	s_delay_alu instid0(SALU_CYCLE_1)
	s_xor_b32 s19, exec_lo, s19
	s_cbranch_execz .LBB12_966
; %bb.910:                              ;   in Loop: Header=BB12_77 Depth=1
	s_and_saveexec_b32 s20, s7
	s_cbranch_execz .LBB12_965
; %bb.911:                              ;   in Loop: Header=BB12_77 Depth=1
	s_mov_b32 s42, exec_lo
	s_mov_b32 s21, exec_lo
	v_mbcnt_lo_u32_b32 v10, s42, 0
	;;#ASMSTART
	s_waitcnt lgkmcnt(0) vmcnt(0)
	;;#ASMEND
	s_delay_alu instid0(VALU_DEP_1)
	v_cmpx_eq_u32_e32 0, v10
	s_cbranch_execz .LBB12_913
; %bb.912:                              ;   in Loop: Header=BB12_77 Depth=1
	s_bcnt1_i32_b32 s42, s42
	s_delay_alu instid0(SALU_CYCLE_1)
	v_mov_b32_e32 v34, s42
	s_wait_storecnt 0x0
	s_wait_loadcnt_dscnt 0x0
	ds_add_u64 v0, v[34:35]
	s_trap 2
.LBB12_913:                             ;   in Loop: Header=BB12_77 Depth=1
	s_or_b32 exec_lo, exec_lo, s21
	s_trap 2
	ds_load_b64 v[10:11], v0
	s_wait_dscnt 0x0
	v_add_nc_u64_e32 v[26:27], v[26:27], v[36:37]
	s_mov_b32 s21, exec_lo
	s_delay_alu instid0(VALU_DEP_1)
	v_cmpx_lt_u64_e64 v[10:11], v[26:27]
	s_cbranch_execz .LBB12_964
; %bb.914:                              ;   in Loop: Header=BB12_77 Depth=1
	s_mov_b32 s42, 0
	s_mov_b32 s45, 0
                                        ; implicit-def: $sgpr43
                                        ; implicit-def: $sgpr44
	s_branch .LBB12_916
.LBB12_915:                             ;   in Loop: Header=BB12_916 Depth=2
	s_or_b32 exec_lo, exec_lo, s47
	s_delay_alu instid0(SALU_CYCLE_1) | instskip(NEXT) | instid1(SALU_CYCLE_1)
	s_and_b32 s46, exec_lo, s56
	s_or_b32 s42, s46, s42
	s_and_not1_b32 s43, s43, exec_lo
	s_and_b32 s46, s44, exec_lo
	s_delay_alu instid0(SALU_CYCLE_1)
	s_or_b32 s43, s43, s46
	s_and_not1_b32 exec_lo, exec_lo, s42
	s_cbranch_execz .LBB12_962
.LBB12_916:                             ;   Parent Loop BB12_77 Depth=1
                                        ; =>  This Inner Loop Header: Depth=2
	s_add_co_i32 s45, s45, 1
	s_delay_alu instid0(SALU_CYCLE_1) | instskip(SKIP_1) | instid1(SALU_CYCLE_1)
	s_cmp_lg_u32 s45, 0x2710
	s_cselect_b32 s46, -1, 0
	s_and_b32 vcc_lo, exec_lo, s46
	s_cbranch_vccz .LBB12_918
; %bb.917:                              ;   in Loop: Header=BB12_916 Depth=2
	s_mov_b32 s56, -1
	s_or_b32 s44, s44, exec_lo
	s_and_saveexec_b32 s47, s46
	s_cbranch_execz .LBB12_915
	s_branch .LBB12_919
.LBB12_918:                             ;   in Loop: Header=BB12_916 Depth=2
	s_trap 2
	ds_load_b64 v[10:11], v0
	s_and_not1_b32 s46, s46, exec_lo
	s_mov_b32 s45, 0
	s_wait_storecnt 0x0
	s_wait_loadcnt_dscnt 0x0
	flat_load_b32 v10, v[10:11] scope:SCOPE_SYS
	s_wait_loadcnt_dscnt 0x0
	global_inv scope:SCOPE_SYS
	v_cmp_eq_u32_e32 vcc_lo, 0, v10
	s_and_b32 s47, vcc_lo, exec_lo
	s_delay_alu instid0(SALU_CYCLE_1)
	s_or_b32 s46, s46, s47
	s_mov_b32 s56, -1
	s_or_b32 s44, s44, exec_lo
	s_and_saveexec_b32 s47, s46
	s_cbranch_execz .LBB12_915
.LBB12_919:                             ;   in Loop: Header=BB12_916 Depth=2
	s_sleep 1
	s_trap 2
	ds_load_b64 v[10:11], v0
	s_wait_dscnt 0x0
	s_and_not1_b32 s44, s44, exec_lo
	v_cmp_ge_u64_e32 vcc_lo, v[10:11], v[26:27]
	s_or_not1_b32 s56, vcc_lo, exec_lo
	s_branch .LBB12_915
.LBB12_920:                             ;   in Loop: Header=BB12_77 Depth=1
	s_or_b32 exec_lo, exec_lo, s21
	s_xor_b32 s14, s42, -1
	s_delay_alu instid0(SALU_CYCLE_1) | instskip(NEXT) | instid1(SALU_CYCLE_1)
	s_and_saveexec_b32 s21, s14
	s_xor_b32 s14, exec_lo, s21
	s_cbranch_execz .LBB12_922
; %bb.921:                              ;   in Loop: Header=BB12_77 Depth=1
	v_or_b32_e32 v116, 64, v116
	s_wait_storecnt 0x0
	s_wait_loadcnt_dscnt 0x0
	ds_store_b32 v0, v9
	s_trap 2
.LBB12_922:                             ;   in Loop: Header=BB12_77 Depth=1
	s_or_b32 exec_lo, exec_lo, s14
.LBB12_923:                             ;   in Loop: Header=BB12_77 Depth=1
	s_delay_alu instid0(SALU_CYCLE_1) | instskip(SKIP_4) | instid1(VALU_DEP_2)
	s_or_b32 exec_lo, exec_lo, s20
	v_and_b32_e32 v9, 0x100, v116
	v_and_b32_e32 v34, 7, v8
	s_mov_b32 s14, -1
	;;#ASMSTART
	s_wakeup
	;;#ASMEND
	v_cmp_ne_u32_e32 vcc_lo, 0, v9
                                        ; implicit-def: $vgpr8_vgpr9
	s_and_saveexec_b32 s20, vcc_lo
	s_cbranch_execz .LBB12_927
; %bb.924:                              ;   in Loop: Header=BB12_77 Depth=1
	v_mad_nc_u64_u32 v[86:87], v34, 24, v[6:7]
	v_ashrrev_i32_e32 v11, 31, v10
	s_clause 0x1
	flat_load_b32 v8, v[86:87]
	flat_store_b64 v[86:87], v[10:11] offset:8
	s_wait_loadcnt_dscnt 0x1
	v_cmp_eq_u32_e64 s14, 1, v8
	v_cmp_ne_u32_e32 vcc_lo, 1, v8
                                        ; implicit-def: $vgpr8_vgpr9
	s_wait_xcnt 0x0
	s_and_saveexec_b32 s21, s14
	s_cbranch_execz .LBB12_926
; %bb.925:                              ;   in Loop: Header=BB12_77 Depth=1
	flat_load_b32 v8, v[86:87] offset:4 scope:SCOPE_SYS
	s_wait_loadcnt_dscnt 0x0
	v_ashrrev_i32_e32 v9, 31, v8
.LBB12_926:                             ;   in Loop: Header=BB12_77 Depth=1
	s_wait_xcnt 0x0
	s_or_b32 exec_lo, exec_lo, s21
	s_delay_alu instid0(SALU_CYCLE_1)
	s_or_not1_b32 s14, vcc_lo, exec_lo
.LBB12_927:                             ;   in Loop: Header=BB12_77 Depth=1
	s_or_b32 exec_lo, exec_lo, s20
	s_and_saveexec_b32 s20, s14
; %bb.928:                              ;   in Loop: Header=BB12_77 Depth=1
	v_mul_u64_e32 v[8:9], v[34:35], v[22:23]
; %bb.929:                              ;   in Loop: Header=BB12_77 Depth=1
	s_or_b32 exec_lo, exec_lo, s20
	s_delay_alu instid0(VALU_DEP_1)
	v_add_nc_u64_e32 v[8:9], v[24:25], v[8:9]
	v_and_b32_e32 v11, 0x2000, v116
	s_mov_b32 s14, exec_lo
	ds_store_b64 v0, v[8:9] offset:784
	v_cmpx_ne_u32_e32 0, v11
	s_cbranch_execz .LBB12_931
; %bb.930:                              ;   in Loop: Header=BB12_77 Depth=1
	ds_load_b64 v[8:9], v0 offset:872
	s_wait_dscnt 0x0
	v_add_nc_u64_e32 v[8:9], 1, v[8:9]
	ds_store_b64 v0, v[8:9] offset:872
.LBB12_931:                             ;   in Loop: Header=BB12_77 Depth=1
	s_or_b32 exec_lo, exec_lo, s14
	v_mov_b64_e32 v[8:9], v[12:13]
	s_or_b32 exec_lo, exec_lo, s19
	s_and_saveexec_b32 s14, s3
	s_cbranch_execz .LBB12_908
.LBB12_932:                             ;   in Loop: Header=BB12_77 Depth=1
	s_and_saveexec_b32 s19, s4
	s_delay_alu instid0(SALU_CYCLE_1)
	s_xor_b32 s19, exec_lo, s19
	s_cbranch_execz .LBB12_973
; %bb.933:                              ;   in Loop: Header=BB12_77 Depth=1
	s_and_saveexec_b32 s20, s7
	s_cbranch_execz .LBB12_972
; %bb.934:                              ;   in Loop: Header=BB12_77 Depth=1
	s_mov_b32 s42, exec_lo
	s_mov_b32 s21, exec_lo
	v_mbcnt_lo_u32_b32 v11, s42, 0
	global_wb scope:SCOPE_DEV
	s_wait_storecnt 0x0
	s_wait_loadcnt_dscnt 0x0
	global_inv scope:SCOPE_DEV
	v_cmpx_eq_u32_e32 0, v11
	s_cbranch_execz .LBB12_936
; %bb.935:                              ;   in Loop: Header=BB12_77 Depth=1
	s_bcnt1_i32_b32 s42, s42
	s_delay_alu instid0(SALU_CYCLE_1)
	v_mov_b32_e32 v34, s42
	s_wait_loadcnt 0x0
	ds_add_u64 v0, v[34:35]
	s_trap 2
.LBB12_936:                             ;   in Loop: Header=BB12_77 Depth=1
	s_or_b32 exec_lo, exec_lo, s21
	s_trap 2
	ds_load_b64 v[12:13], v0
	s_wait_dscnt 0x0
	v_add_nc_u64_e32 v[26:27], v[26:27], v[36:37]
	s_mov_b32 s21, exec_lo
	s_delay_alu instid0(VALU_DEP_1)
	v_cmpx_lt_u64_e64 v[12:13], v[26:27]
	s_cbranch_execz .LBB12_971
; %bb.937:                              ;   in Loop: Header=BB12_77 Depth=1
	s_mov_b32 s42, 0
	s_mov_b32 s45, 0
                                        ; implicit-def: $sgpr43
                                        ; implicit-def: $sgpr44
	s_branch .LBB12_939
.LBB12_938:                             ;   in Loop: Header=BB12_939 Depth=2
	s_or_b32 exec_lo, exec_lo, s47
	s_delay_alu instid0(SALU_CYCLE_1) | instskip(NEXT) | instid1(SALU_CYCLE_1)
	s_and_b32 s46, exec_lo, s56
	s_or_b32 s42, s46, s42
	s_and_not1_b32 s43, s43, exec_lo
	s_and_b32 s46, s44, exec_lo
	s_delay_alu instid0(SALU_CYCLE_1)
	s_or_b32 s43, s43, s46
	s_and_not1_b32 exec_lo, exec_lo, s42
	s_cbranch_execz .LBB12_969
.LBB12_939:                             ;   Parent Loop BB12_77 Depth=1
                                        ; =>  This Inner Loop Header: Depth=2
	s_add_co_i32 s45, s45, 1
	s_delay_alu instid0(SALU_CYCLE_1) | instskip(SKIP_1) | instid1(SALU_CYCLE_1)
	s_cmp_lg_u32 s45, 0x2710
	s_cselect_b32 s46, -1, 0
	s_and_b32 vcc_lo, exec_lo, s46
	s_cbranch_vccz .LBB12_941
; %bb.940:                              ;   in Loop: Header=BB12_939 Depth=2
	s_mov_b32 s56, -1
	s_or_b32 s44, s44, exec_lo
	s_and_saveexec_b32 s47, s46
	s_cbranch_execz .LBB12_938
	s_branch .LBB12_942
.LBB12_941:                             ;   in Loop: Header=BB12_939 Depth=2
	s_trap 2
	ds_load_b64 v[12:13], v0
	s_and_not1_b32 s46, s46, exec_lo
	s_mov_b32 s45, 0
	s_wait_loadcnt_dscnt 0x0
	flat_load_b32 v11, v[12:13] scope:SCOPE_SYS
	s_wait_loadcnt_dscnt 0x0
	global_inv scope:SCOPE_SYS
	v_cmp_eq_u32_e32 vcc_lo, 0, v11
	s_and_b32 s47, vcc_lo, exec_lo
	s_delay_alu instid0(SALU_CYCLE_1)
	s_or_b32 s46, s46, s47
	s_mov_b32 s56, -1
	s_or_b32 s44, s44, exec_lo
	s_and_saveexec_b32 s47, s46
	s_cbranch_execz .LBB12_938
.LBB12_942:                             ;   in Loop: Header=BB12_939 Depth=2
	s_sleep 1
	s_trap 2
	ds_load_b64 v[12:13], v0
	s_wait_dscnt 0x0
	s_and_not1_b32 s44, s44, exec_lo
	v_cmp_ge_u64_e32 vcc_lo, v[12:13], v[26:27]
	s_or_not1_b32 s56, vcc_lo, exec_lo
	s_branch .LBB12_938
.LBB12_943:                             ;   in Loop: Header=BB12_77 Depth=1
	s_or_b32 exec_lo, exec_lo, s42
	s_and_saveexec_b32 s42, s43
	s_delay_alu instid0(SALU_CYCLE_1)
	s_xor_b32 s42, exec_lo, s42
	s_cbranch_execz .LBB12_945
; %bb.944:                              ;   in Loop: Header=BB12_77 Depth=1
	ds_store_b32 v0, v118
	s_trap 2
.LBB12_945:                             ;   in Loop: Header=BB12_77 Depth=1
	s_or_b32 exec_lo, exec_lo, s40
	;;#ASMSTART
	s_wakeup
	;;#ASMEND
.LBB12_946:                             ;   in Loop: Header=BB12_77 Depth=1
	s_or_b32 exec_lo, exec_lo, s21
.LBB12_947:                             ;   in Loop: Header=BB12_77 Depth=1
	s_and_not1_saveexec_b32 s20, s20
	s_cbranch_execz .LBB12_949
; %bb.948:                              ;   in Loop: Header=BB12_77 Depth=1
	global_wb scope:SCOPE_DEV
	s_wait_storecnt 0x0
	s_wait_loadcnt_dscnt 0x0
	global_inv scope:SCOPE_DEV
	s_barrier_signal -1
	s_barrier_wait -1
.LBB12_949:                             ;   in Loop: Header=BB12_77 Depth=1
	s_or_b32 exec_lo, exec_lo, s20
	s_delay_alu instid0(SALU_CYCLE_1) | instskip(SKIP_1) | instid1(SALU_CYCLE_1)
	s_or_b32 exec_lo, exec_lo, s16
	s_and_saveexec_b32 s16, s12
	s_xor_b32 s20, exec_lo, s16
	s_cbranch_execnz .LBB12_881
.LBB12_950:                             ;   in Loop: Header=BB12_77 Depth=1
	s_and_not1_saveexec_b32 s16, s20
	s_cbranch_execz .LBB12_994
.LBB12_951:                             ;   in Loop: Header=BB12_77 Depth=1
	s_and_saveexec_b32 s20, s4
	s_delay_alu instid0(SALU_CYCLE_1)
	s_xor_b32 s20, exec_lo, s20
	s_cbranch_execz .LBB12_991
; %bb.952:                              ;   in Loop: Header=BB12_77 Depth=1
	s_and_saveexec_b32 s21, s7
	s_cbranch_execz .LBB12_990
; %bb.953:                              ;   in Loop: Header=BB12_77 Depth=1
	s_mov_b32 s42, exec_lo
	s_mov_b32 s40, exec_lo
	v_mbcnt_lo_u32_b32 v10, s42, 0
	;;#ASMSTART
	s_waitcnt lgkmcnt(0) vmcnt(0)
	;;#ASMEND
	s_delay_alu instid0(VALU_DEP_1)
	v_cmpx_eq_u32_e32 0, v10
	s_cbranch_execz .LBB12_955
; %bb.954:                              ;   in Loop: Header=BB12_77 Depth=1
	s_bcnt1_i32_b32 s42, s42
	s_delay_alu instid0(SALU_CYCLE_1)
	v_mov_b32_e32 v34, s42
	s_wait_storecnt 0x0
	s_wait_loadcnt_dscnt 0x0
	ds_add_u64 v0, v[34:35]
	s_trap 2
.LBB12_955:                             ;   in Loop: Header=BB12_77 Depth=1
	s_or_b32 exec_lo, exec_lo, s40
	s_trap 2
	ds_load_b64 v[10:11], v0
	s_wait_dscnt 0x0
	v_add_nc_u64_e32 v[26:27], v[26:27], v[36:37]
	s_mov_b32 s40, exec_lo
	s_delay_alu instid0(VALU_DEP_1)
	v_cmpx_lt_u64_e64 v[10:11], v[26:27]
	s_cbranch_execz .LBB12_989
; %bb.956:                              ;   in Loop: Header=BB12_77 Depth=1
	s_mov_b32 s42, 0
	s_mov_b32 s45, 0
                                        ; implicit-def: $sgpr43
                                        ; implicit-def: $sgpr44
	s_branch .LBB12_958
.LBB12_957:                             ;   in Loop: Header=BB12_958 Depth=2
	s_or_b32 exec_lo, exec_lo, s47
	s_delay_alu instid0(SALU_CYCLE_1) | instskip(NEXT) | instid1(SALU_CYCLE_1)
	s_and_b32 s46, exec_lo, s56
	s_or_b32 s42, s46, s42
	s_and_not1_b32 s43, s43, exec_lo
	s_and_b32 s46, s44, exec_lo
	s_delay_alu instid0(SALU_CYCLE_1)
	s_or_b32 s43, s43, s46
	s_and_not1_b32 exec_lo, exec_lo, s42
	s_cbranch_execz .LBB12_987
.LBB12_958:                             ;   Parent Loop BB12_77 Depth=1
                                        ; =>  This Inner Loop Header: Depth=2
	s_add_co_i32 s45, s45, 1
	s_delay_alu instid0(SALU_CYCLE_1) | instskip(SKIP_1) | instid1(SALU_CYCLE_1)
	s_cmp_lg_u32 s45, 0x2710
	s_cselect_b32 s46, -1, 0
	s_and_b32 vcc_lo, exec_lo, s46
	s_cbranch_vccz .LBB12_960
; %bb.959:                              ;   in Loop: Header=BB12_958 Depth=2
	s_mov_b32 s56, -1
	s_or_b32 s44, s44, exec_lo
	s_and_saveexec_b32 s47, s46
	s_cbranch_execz .LBB12_957
	s_branch .LBB12_961
.LBB12_960:                             ;   in Loop: Header=BB12_958 Depth=2
	s_trap 2
	ds_load_b64 v[10:11], v0
	s_and_not1_b32 s46, s46, exec_lo
	s_mov_b32 s45, 0
	s_wait_storecnt 0x0
	s_wait_loadcnt_dscnt 0x0
	flat_load_b32 v10, v[10:11] scope:SCOPE_SYS
	s_wait_loadcnt_dscnt 0x0
	global_inv scope:SCOPE_SYS
	v_cmp_eq_u32_e32 vcc_lo, 0, v10
	s_and_b32 s47, vcc_lo, exec_lo
	s_delay_alu instid0(SALU_CYCLE_1)
	s_or_b32 s46, s46, s47
	s_mov_b32 s56, -1
	s_or_b32 s44, s44, exec_lo
	s_and_saveexec_b32 s47, s46
	s_cbranch_execz .LBB12_957
.LBB12_961:                             ;   in Loop: Header=BB12_958 Depth=2
	s_sleep 1
	s_trap 2
	ds_load_b64 v[10:11], v0
	s_wait_dscnt 0x0
	s_and_not1_b32 s44, s44, exec_lo
	v_cmp_ge_u64_e32 vcc_lo, v[10:11], v[26:27]
	s_or_not1_b32 s56, vcc_lo, exec_lo
	s_branch .LBB12_957
.LBB12_962:                             ;   in Loop: Header=BB12_77 Depth=1
	s_or_b32 exec_lo, exec_lo, s42
	s_and_saveexec_b32 s42, s43
	s_delay_alu instid0(SALU_CYCLE_1)
	s_xor_b32 s42, exec_lo, s42
	s_cbranch_execz .LBB12_964
; %bb.963:                              ;   in Loop: Header=BB12_77 Depth=1
	ds_store_b32 v0, v118
	s_trap 2
.LBB12_964:                             ;   in Loop: Header=BB12_77 Depth=1
	s_or_b32 exec_lo, exec_lo, s21
	;;#ASMSTART
	s_wakeup
	;;#ASMEND
.LBB12_965:                             ;   in Loop: Header=BB12_77 Depth=1
	s_or_b32 exec_lo, exec_lo, s20
.LBB12_966:                             ;   in Loop: Header=BB12_77 Depth=1
	s_and_not1_saveexec_b32 s19, s19
	s_cbranch_execz .LBB12_968
; %bb.967:                              ;   in Loop: Header=BB12_77 Depth=1
	;;#ASMSTART
	s_waitcnt lgkmcnt(0) vmcnt(0)
	;;#ASMEND
	s_barrier_signal -1
	s_barrier_wait -1
.LBB12_968:                             ;   in Loop: Header=BB12_77 Depth=1
	s_or_b32 exec_lo, exec_lo, s19
	v_and_b32_e32 v11, 16, v116
                                        ; implicit-def: $vgpr10
	s_and_not1_saveexec_b32 s19, s14
	s_cbranch_execz .LBB12_980
	s_branch .LBB12_977
.LBB12_969:                             ;   in Loop: Header=BB12_77 Depth=1
	s_or_b32 exec_lo, exec_lo, s42
	s_and_saveexec_b32 s42, s43
	s_delay_alu instid0(SALU_CYCLE_1)
	s_xor_b32 s42, exec_lo, s42
	s_cbranch_execz .LBB12_971
; %bb.970:                              ;   in Loop: Header=BB12_77 Depth=1
	ds_store_b32 v0, v118
	s_trap 2
.LBB12_971:                             ;   in Loop: Header=BB12_77 Depth=1
	s_or_b32 exec_lo, exec_lo, s21
	;;#ASMSTART
	s_wakeup
	;;#ASMEND
.LBB12_972:                             ;   in Loop: Header=BB12_77 Depth=1
	s_or_b32 exec_lo, exec_lo, s20
.LBB12_973:                             ;   in Loop: Header=BB12_77 Depth=1
	s_and_not1_saveexec_b32 s19, s19
	s_cbranch_execz .LBB12_975
; %bb.974:                              ;   in Loop: Header=BB12_77 Depth=1
	global_wb scope:SCOPE_DEV
	s_wait_storecnt 0x0
	s_wait_loadcnt_dscnt 0x0
	global_inv scope:SCOPE_DEV
	s_barrier_signal -1
	s_barrier_wait -1
.LBB12_975:                             ;   in Loop: Header=BB12_77 Depth=1
	s_or_b32 exec_lo, exec_lo, s19
	s_delay_alu instid0(SALU_CYCLE_1) | instskip(SKIP_1) | instid1(SALU_CYCLE_1)
	s_or_b32 exec_lo, exec_lo, s14
                                        ; implicit-def: $vgpr11
	s_and_saveexec_b32 s14, s28
	s_xor_b32 s14, exec_lo, s14
	s_cbranch_execnz .LBB12_909
.LBB12_976:                             ;   in Loop: Header=BB12_77 Depth=1
	s_and_not1_saveexec_b32 s19, s14
	s_cbranch_execz .LBB12_980
.LBB12_977:                             ;   in Loop: Header=BB12_77 Depth=1
	s_trap 2
	ds_load_b32 v11, v0
	v_cmp_lt_i32_e32 vcc_lo, 0, v10
	s_wait_dscnt 0x0
	v_readfirstlane_b32 s14, v11
	v_and_b32_e32 v11, 16, v116
	s_cmp_eq_u32 s14, 0
	s_delay_alu instid0(VALU_DEP_1) | instskip(SKIP_3) | instid1(SALU_CYCLE_1)
	v_cmp_ne_u32_e64 s14, 0, v11
	s_cselect_b32 s20, -1, 0
	v_and_b32_e32 v11, 16, v116
	s_and_b32 s20, vcc_lo, s20
	s_and_b32 s20, s14, s20
	s_delay_alu instid0(SALU_CYCLE_1)
	s_and_saveexec_b32 s14, s20
	s_cbranch_execz .LBB12_979
; %bb.978:                              ;   in Loop: Header=BB12_77 Depth=1
	v_mov_b32_e32 v11, 1
	global_wb scope:SCOPE_SYS
	s_wait_loadcnt 0x0
	s_wait_storecnt 0x0
	global_inv scope:SCOPE_SYS
.LBB12_979:                             ;   in Loop: Header=BB12_77 Depth=1
	s_or_b32 exec_lo, exec_lo, s14
.LBB12_980:                             ;   in Loop: Header=BB12_77 Depth=1
	s_delay_alu instid0(SALU_CYCLE_1)
	s_or_b32 exec_lo, exec_lo, s19
	s_mov_b32 s14, s17
	s_mov_b32 s20, s16
	s_mov_b32 s19, exec_lo
	v_cmpx_ne_u32_e32 0, v11
; %bb.981:                              ;   in Loop: Header=BB12_77 Depth=1
	s_and_not1_b32 s14, s16, exec_lo
	s_and_b32 s20, s5, exec_lo
	s_and_not1_b32 s21, s17, exec_lo
	s_and_b32 s42, s6, exec_lo
	s_or_b32 s20, s14, s20
	s_or_b32 s14, s21, s42
; %bb.982:                              ;   in Loop: Header=BB12_77 Depth=1
	s_or_b32 exec_lo, exec_lo, s19
	s_delay_alu instid0(SALU_CYCLE_1)
	s_and_not1_b32 s19, s16, exec_lo
	s_and_b32 s20, s20, exec_lo
	s_and_not1_b32 s21, s17, exec_lo
	s_and_b32 s14, s14, exec_lo
	s_or_b32 s20, s19, s20
	s_or_b32 s19, s21, s14
.LBB12_983:                             ;   in Loop: Header=BB12_77 Depth=1
	s_or_b32 exec_lo, exec_lo, s15
	s_delay_alu instid0(SALU_CYCLE_1)
	s_and_not1_b32 s14, s16, exec_lo
	s_and_b32 s15, s20, exec_lo
	s_and_not1_b32 s17, s17, exec_lo
	s_and_b32 s19, s19, exec_lo
	s_or_b32 s16, s14, s15
	s_or_b32 s17, s17, s19
.LBB12_984:                             ;   in Loop: Header=BB12_77 Depth=1
	s_or_b32 exec_lo, exec_lo, s18
	s_and_saveexec_b32 s14, s17
	s_cbranch_execz .LBB12_986
; %bb.985:                              ;   in Loop: Header=BB12_77 Depth=1
	s_or_b32 s16, s16, exec_lo
	global_wb scope:SCOPE_SYS
	s_wait_storecnt 0x0
	s_wait_loadcnt_dscnt 0x0
	flat_store_b32 v[28:29], v118 scope:SCOPE_SYS
.LBB12_986:                             ;   in Loop: Header=BB12_77 Depth=1
	s_wait_xcnt 0x0
	s_or_b32 exec_lo, exec_lo, s14
	s_delay_alu instid0(SALU_CYCLE_1) | instskip(SKIP_1) | instid1(SALU_CYCLE_1)
	s_and_not1_b32 s14, s40, exec_lo
	s_and_b32 s15, s16, exec_lo
	s_or_b32 s40, s14, s15
	s_or_b32 exec_lo, exec_lo, s41
	s_and_saveexec_b32 s14, s40
	s_cbranch_execz .LBB12_76
	s_branch .LBB12_998
.LBB12_987:                             ;   in Loop: Header=BB12_77 Depth=1
	s_or_b32 exec_lo, exec_lo, s42
	s_and_saveexec_b32 s42, s43
	s_delay_alu instid0(SALU_CYCLE_1)
	s_xor_b32 s42, exec_lo, s42
	s_cbranch_execz .LBB12_989
; %bb.988:                              ;   in Loop: Header=BB12_77 Depth=1
	ds_store_b32 v0, v118
	s_trap 2
.LBB12_989:                             ;   in Loop: Header=BB12_77 Depth=1
	s_or_b32 exec_lo, exec_lo, s40
	;;#ASMSTART
	s_wakeup
	;;#ASMEND
.LBB12_990:                             ;   in Loop: Header=BB12_77 Depth=1
	s_or_b32 exec_lo, exec_lo, s21
.LBB12_991:                             ;   in Loop: Header=BB12_77 Depth=1
	s_and_not1_saveexec_b32 s20, s20
	s_cbranch_execz .LBB12_993
; %bb.992:                              ;   in Loop: Header=BB12_77 Depth=1
	;;#ASMSTART
	s_waitcnt lgkmcnt(0) vmcnt(0)
	;;#ASMEND
	s_barrier_signal -1
	s_barrier_wait -1
.LBB12_993:                             ;   in Loop: Header=BB12_77 Depth=1
	s_or_b32 exec_lo, exec_lo, s20
.LBB12_994:                             ;   in Loop: Header=BB12_77 Depth=1
	s_delay_alu instid0(SALU_CYCLE_1) | instskip(SKIP_2) | instid1(VALU_DEP_1)
	s_or_b32 exec_lo, exec_lo, s16
	v_and_b32_e32 v10, 32, v116
	s_and_not1_b32 s16, s17, exec_lo
	v_cmp_ne_u32_e32 vcc_lo, 0, v10
	s_and_b32 s20, vcc_lo, exec_lo
	s_delay_alu instid0(SALU_CYCLE_1)
	s_or_b32 s16, s16, s20
.LBB12_995:                             ;   in Loop: Header=BB12_77 Depth=1
	s_or_b32 exec_lo, exec_lo, s19
	s_delay_alu instid0(SALU_CYCLE_1) | instskip(SKIP_1) | instid1(SALU_CYCLE_1)
	s_and_not1_b32 s17, s17, exec_lo
	s_and_b32 s16, s16, exec_lo
	s_or_b32 s17, s17, s16
.LBB12_996:                             ;   in Loop: Header=BB12_77 Depth=1
	s_or_b32 exec_lo, exec_lo, s18
	s_delay_alu instid0(SALU_CYCLE_1)
	s_and_b32 s40, s17, exec_lo
                                        ; implicit-def: $vgpr86
                                        ; implicit-def: $vgpr43
                                        ; implicit-def: $vgpr10_vgpr11
	s_and_not1_saveexec_b32 s41, s41
	s_cbranch_execnz .LBB12_86
.LBB12_997:                             ;   in Loop: Header=BB12_77 Depth=1
	s_or_b32 exec_lo, exec_lo, s41
	s_and_saveexec_b32 s14, s40
	s_cbranch_execz .LBB12_76
.LBB12_998:                             ;   in Loop: Header=BB12_77 Depth=1
	v_add_nc_u64_e32 v[8:9], 1, v[8:9]
	global_wb scope:SCOPE_SYS
	s_wait_storecnt 0x0
	s_wait_loadcnt_dscnt 0x0
	flat_store_b64 v[20:21], v[8:9] scope:SCOPE_SYS
	s_branch .LBB12_76
.LBB12_999:
	s_or_b32 exec_lo, exec_lo, s25
.LBB12_1000:
	s_delay_alu instid0(SALU_CYCLE_1) | instskip(SKIP_2) | instid1(VALU_DEP_1)
	s_or_b32 exec_lo, exec_lo, s24
	v_and_b32_e32 v0, 0x800, v116
	s_mov_b32 s1, exec_lo
	v_cmpx_eq_u32_e32 0, v0
	s_cbranch_execz .LBB12_1033
; %bb.1001:
	v_and_b32_e32 v0, 48, v116
	s_mov_b32 s0, exec_lo
	s_delay_alu instid0(VALU_DEP_1)
	v_cmpx_ne_u32_e32 0, v0
	s_cbranch_execz .LBB12_1003
; %bb.1002:
	s_wait_dscnt 0x0
	flat_store_b64 v[18:19], v[8:9] offset:104
.LBB12_1003:
	s_wait_xcnt 0x0
	s_or_b32 exec_lo, exec_lo, s0
	v_and_b32_e32 v0, 0x88, v116
	s_mov_b32 s2, exec_lo
	s_delay_alu instid0(VALU_DEP_1)
	v_cmpx_eq_u32_e32 0x88, v0
	s_cbranch_execz .LBB12_1013
; %bb.1004:
	s_wait_dscnt 0x0
	v_add_nc_u32_e32 v0, -1, v8
	v_and_b32_e32 v4, 64, v116
	s_mov_b32 s3, 0
	s_delay_alu instid0(VALU_DEP_2) | instskip(NEXT) | instid1(VALU_DEP_2)
	v_and_b32_e32 v0, 7, v0
	v_cmp_eq_u32_e64 s0, 0, v4
	s_delay_alu instid0(VALU_DEP_2)
	v_mad_nc_u64_u32 v[0:1], v0, 24, v[6:7]
	flat_load_b64 v[2:3], v[0:1] offset:8 scope:SCOPE_SYS
	s_wait_loadcnt_dscnt 0x0
	v_cmp_ne_u64_e32 vcc_lo, -1, v[2:3]
	s_and_b32 s0, vcc_lo, s0
	s_wait_xcnt 0x0
	s_and_b32 exec_lo, exec_lo, s0
	s_cbranch_execz .LBB12_1013
; %bb.1005:
	s_mov_b32 s5, 0
                                        ; implicit-def: $sgpr0
                                        ; implicit-def: $sgpr4
	s_branch .LBB12_1008
.LBB12_1006:                            ;   in Loop: Header=BB12_1008 Depth=1
	flat_load_b64 v[4:5], v[0:1] offset:8 scope:SCOPE_SYS
	s_wait_loadcnt 0x0
	s_and_not1_b32 s4, s4, exec_lo
	s_wait_dscnt 0x0
	v_cmp_eq_u64_e32 vcc_lo, -1, v[4:5]
	s_or_not1_b32 s7, vcc_lo, exec_lo
.LBB12_1007:                            ;   in Loop: Header=BB12_1008 Depth=1
	s_wait_xcnt 0x0
	s_or_b32 exec_lo, exec_lo, s10
	s_delay_alu instid0(SALU_CYCLE_1) | instskip(NEXT) | instid1(SALU_CYCLE_1)
	s_and_b32 s6, exec_lo, s7
	s_or_b32 s3, s6, s3
	s_and_not1_b32 s0, s0, exec_lo
	s_and_b32 s6, s4, exec_lo
	s_delay_alu instid0(SALU_CYCLE_1)
	s_or_b32 s0, s0, s6
	s_and_not1_b32 exec_lo, exec_lo, s3
	s_cbranch_execz .LBB12_1011
.LBB12_1008:                            ; =>This Inner Loop Header: Depth=1
	s_cmp_lt_i32 s5, 0x270f
	s_cselect_b32 s6, -1, 0
	s_delay_alu instid0(SALU_CYCLE_1)
	s_and_b32 vcc_lo, exec_lo, s6
	s_cbranch_vccnz .LBB12_1010
; %bb.1009:                             ;   in Loop: Header=BB12_1008 Depth=1
	s_trap 2
	ds_load_b64 v[2:3], v0
	s_and_not1_b32 s6, s6, exec_lo
	s_mov_b32 s5, 0
	s_wait_storecnt_dscnt 0x0
	flat_load_b32 v2, v[2:3] scope:SCOPE_SYS
	s_wait_loadcnt_dscnt 0x0
	global_inv scope:SCOPE_SYS
	v_cmp_eq_u32_e32 vcc_lo, 0, v2
	s_and_b32 s7, vcc_lo, exec_lo
	s_delay_alu instid0(SALU_CYCLE_1)
	s_or_b32 s6, s6, s7
	s_mov_b32 s7, -1
	s_or_b32 s4, s4, exec_lo
	s_wait_xcnt 0x0
	s_and_saveexec_b32 s10, s6
	s_cbranch_execz .LBB12_1007
	s_branch .LBB12_1006
.LBB12_1010:                            ;   in Loop: Header=BB12_1008 Depth=1
	s_add_co_i32 s5, s5, 1
                                        ; implicit-def: $vgpr2
	s_mov_b32 s7, -1
	s_or_b32 s4, s4, exec_lo
	s_and_saveexec_b32 s10, s6
	s_cbranch_execz .LBB12_1007
	s_branch .LBB12_1006
.LBB12_1011:
	s_or_b32 exec_lo, exec_lo, s3
	s_and_saveexec_b32 s3, s0
	s_delay_alu instid0(SALU_CYCLE_1)
	s_xor_b32 s3, exec_lo, s3
	s_cbranch_execz .LBB12_1013
; %bb.1012:
	s_wait_loadcnt 0x0
	s_wait_storecnt 0x0
	ds_store_b32 v0, v2
	s_trap 2
.LBB12_1013:
	s_or_b32 exec_lo, exec_lo, s2
	v_and_b32_e32 v0, 0x2000, v116
	s_mov_b32 s0, exec_lo
	s_delay_alu instid0(VALU_DEP_1)
	v_cmpx_ne_u32_e32 0, v0
	s_cbranch_execz .LBB12_1015
; %bb.1014:
	ds_load_b64 v[0:1], v0 offset:872
	s_wait_dscnt 0x0
	flat_store_b64 v[16:17], v[0:1] offset:16
.LBB12_1015:
	s_wait_xcnt 0x0
	s_or_b32 exec_lo, exec_lo, s0
	v_cmp_ne_u32_e32 vcc_lo, 32, v30
	s_and_b32 exec_lo, exec_lo, vcc_lo
	s_cbranch_execz .LBB12_1033
; %bb.1016:
	s_mov_b32 s0, exec_lo
	v_cmpx_ne_u32_e64 v30, v117
	s_xor_b32 s0, exec_lo, s0
	s_cbranch_execz .LBB12_1031
; %bb.1017:
	v_and_b32_e32 v0, 31, v31
	s_mov_b32 s2, exec_lo
	s_delay_alu instid0(VALU_DEP_1)
	v_cmpx_eq_u32_e32 0, v0
	s_cbranch_execz .LBB12_1030
; %bb.1018:
	s_mov_b32 s4, exec_lo
	s_mov_b32 s3, exec_lo
	v_mbcnt_lo_u32_b32 v0, s4, 0
	global_wb scope:SCOPE_DEV
	s_wait_storecnt 0x0
	s_wait_loadcnt_dscnt 0x0
	global_inv scope:SCOPE_DEV
	v_cmpx_eq_u32_e32 0, v0
	s_cbranch_execz .LBB12_1020
; %bb.1019:
	s_bcnt1_i32_b32 s4, s4
	s_delay_alu instid0(SALU_CYCLE_1)
	v_dual_mov_b32 v1, 0 :: v_dual_mov_b32 v0, s4
	s_wait_loadcnt 0x0
	ds_add_u64 v0, v[0:1]
	s_trap 2
.LBB12_1020:
	s_or_b32 exec_lo, exec_lo, s3
	s_trap 2
	ds_load_b64 v[2:3], v0
	s_wait_dscnt 0x0
	v_dual_mov_b32 v1, 0 :: v_dual_lshrrev_b32 v0, 5, v30
	s_mov_b32 s3, exec_lo
	s_delay_alu instid0(VALU_DEP_1) | instskip(NEXT) | instid1(VALU_DEP_1)
	v_add_nc_u64_e32 v[0:1], v[26:27], v[0:1]
	v_cmpx_lt_u64_e64 v[2:3], v[0:1]
	s_cbranch_execz .LBB12_1029
; %bb.1021:
	s_mov_b32 s4, 0
	s_mov_b32 s7, 0
                                        ; implicit-def: $sgpr5
                                        ; implicit-def: $sgpr6
	s_branch .LBB12_1023
.LBB12_1022:                            ;   in Loop: Header=BB12_1023 Depth=1
	s_or_b32 exec_lo, exec_lo, s11
	s_delay_alu instid0(SALU_CYCLE_1) | instskip(NEXT) | instid1(SALU_CYCLE_1)
	s_and_b32 s10, exec_lo, s12
	s_or_b32 s4, s10, s4
	s_and_not1_b32 s5, s5, exec_lo
	s_and_b32 s10, s6, exec_lo
	s_delay_alu instid0(SALU_CYCLE_1)
	s_or_b32 s5, s5, s10
	s_and_not1_b32 exec_lo, exec_lo, s4
	s_cbranch_execz .LBB12_1027
.LBB12_1023:                            ; =>This Inner Loop Header: Depth=1
	s_add_co_i32 s7, s7, 1
	s_delay_alu instid0(SALU_CYCLE_1) | instskip(SKIP_1) | instid1(SALU_CYCLE_1)
	s_cmp_lg_u32 s7, 0x2710
	s_cselect_b32 s10, -1, 0
	s_and_b32 vcc_lo, exec_lo, s10
	s_cbranch_vccz .LBB12_1025
; %bb.1024:                             ;   in Loop: Header=BB12_1023 Depth=1
	s_mov_b32 s12, -1
	s_or_b32 s6, s6, exec_lo
	s_and_saveexec_b32 s11, s10
	s_cbranch_execz .LBB12_1022
	s_branch .LBB12_1026
.LBB12_1025:                            ;   in Loop: Header=BB12_1023 Depth=1
	s_trap 2
	ds_load_b64 v[2:3], v0
	s_and_not1_b32 s10, s10, exec_lo
	s_mov_b32 s7, 0
	s_wait_loadcnt_dscnt 0x0
	flat_load_b32 v2, v[2:3] scope:SCOPE_SYS
	s_wait_loadcnt_dscnt 0x0
	global_inv scope:SCOPE_SYS
	v_cmp_eq_u32_e32 vcc_lo, 0, v2
	s_and_b32 s11, vcc_lo, exec_lo
	s_delay_alu instid0(SALU_CYCLE_1)
	s_or_b32 s10, s10, s11
	s_mov_b32 s12, -1
	s_or_b32 s6, s6, exec_lo
	s_and_saveexec_b32 s11, s10
	s_cbranch_execz .LBB12_1022
.LBB12_1026:                            ;   in Loop: Header=BB12_1023 Depth=1
	s_sleep 1
	s_trap 2
	ds_load_b64 v[2:3], v0
	s_wait_dscnt 0x0
	s_and_not1_b32 s6, s6, exec_lo
	v_cmp_ge_u64_e32 vcc_lo, v[2:3], v[0:1]
	s_or_not1_b32 s12, vcc_lo, exec_lo
	s_branch .LBB12_1022
.LBB12_1027:
	s_or_b32 exec_lo, exec_lo, s4
	s_and_saveexec_b32 s4, s5
	s_delay_alu instid0(SALU_CYCLE_1)
	s_xor_b32 s4, exec_lo, s4
	s_cbranch_execz .LBB12_1029
; %bb.1028:
	v_mov_b32_e32 v0, 1
	ds_store_b32 v0, v0
	s_trap 2
.LBB12_1029:
	s_or_b32 exec_lo, exec_lo, s3
	;;#ASMSTART
	s_wakeup
	;;#ASMEND
.LBB12_1030:
	s_or_b32 exec_lo, exec_lo, s2
.LBB12_1031:
	s_and_not1_saveexec_b32 s0, s0
	s_cbranch_execz .LBB12_1033
; %bb.1032:
	global_wb scope:SCOPE_DEV
	s_wait_storecnt 0x0
	s_wait_loadcnt_dscnt 0x0
	global_inv scope:SCOPE_DEV
	s_barrier_signal -1
	s_barrier_wait -1
.LBB12_1033:
	s_or_b32 exec_lo, exec_lo, s1
.LBB12_1034:
	s_and_not1_saveexec_b32 s21, s23
	s_cbranch_execz .LBB12_1036
; %bb.1035:
	s_get_pc_i64 s[0:1]
	s_add_nc_u64 s[0:1], s[0:1], __PRETTY_FUNCTION__._ZN10PrimitivesIa7FuncSumIaE12FanSymmetricILi1EELi0E11ProtoSimpleILi1ELi1ELi0ELi4ELi0ELi0EELi0ELb0ELi0ELi0ELi0EEC2EiiPKiS8_PKvPvmhhhP15ncclDevWorkCollP14ncclDevWorkP2pii@rel64+4
	s_get_pc_i64 s[2:3]
	s_add_nc_u64 s[2:3], s[2:3], __assert_fail@rel64+4
	v_dual_mov_b32 v0, s0 :: v_dual_mov_b32 v1, s1
	s_swap_pc_i64 s[30:31], s[2:3]
	; divergent unreachable
.LBB12_1036:
	s_or_b32 exec_lo, exec_lo, s21
.LBB12_1037:
	s_delay_alu instid0(SALU_CYCLE_1)
	s_or_b32 exec_lo, exec_lo, s22
	s_clause 0x22
	scratch_load_b32 v106, off, s33
	scratch_load_b32 v105, off, s33 offset:4
	scratch_load_b32 v104, off, s33 offset:8
	;; [unrolled: 1-line block ×34, first 2 shown]
	v_readlane_b32 s30, v107, 0
	v_readlane_b32 s31, v107, 1
	s_mov_b32 s32, s33
	s_wait_xcnt 0x0
	s_or_saveexec_b32 s0, -1
	scratch_load_b32 v107, off, s33 offset:140 ; 4-byte Folded Reload
	s_wait_xcnt 0x0
	s_mov_b32 exec_lo, s0
	s_mov_b32 s33, s60
	s_wait_loadcnt_dscnt 0x0
	s_set_pc_i64 s[30:31]
.Lfunc_end12:
	.size	_ZN12_GLOBAL__N_17runRingIa7FuncSumIaE11ProtoSimpleILi1ELi1ELi0ELi4ELi0ELi0EELi0ELi4ELi0EEEviiP15ncclDevWorkColl, .Lfunc_end12-_ZN12_GLOBAL__N_17runRingIa7FuncSumIaE11ProtoSimpleILi1ELi1ELi0ELi4ELi0ELi0EELi0ELi4ELi0EEEviiP15ncclDevWorkColl
                                        ; -- End function
	.set .L_ZN12_GLOBAL__N_17runRingIa7FuncSumIaE11ProtoSimpleILi1ELi1ELi0ELi4ELi0ELi0EELi0ELi4ELi0EEEviiP15ncclDevWorkColl.num_vgpr, max(120, .L__assert_fail.num_vgpr)
	.set .L_ZN12_GLOBAL__N_17runRingIa7FuncSumIaE11ProtoSimpleILi1ELi1ELi0ELi4ELi0ELi0EELi0ELi4ELi0EEEviiP15ncclDevWorkColl.num_agpr, max(0, .L__assert_fail.num_agpr)
	.set .L_ZN12_GLOBAL__N_17runRingIa7FuncSumIaE11ProtoSimpleILi1ELi1ELi0ELi4ELi0ELi0EELi0ELi4ELi0EEEviiP15ncclDevWorkColl.numbered_sgpr, max(61, .L__assert_fail.numbered_sgpr)
	.set .L_ZN12_GLOBAL__N_17runRingIa7FuncSumIaE11ProtoSimpleILi1ELi1ELi0ELi4ELi0ELi0EELi0ELi4ELi0EEEviiP15ncclDevWorkColl.num_named_barrier, max(0, .L__assert_fail.num_named_barrier)
	.set .L_ZN12_GLOBAL__N_17runRingIa7FuncSumIaE11ProtoSimpleILi1ELi1ELi0ELi4ELi0ELi0EELi0ELi4ELi0EEEviiP15ncclDevWorkColl.private_seg_size, 160+max(.L__assert_fail.private_seg_size)
	.set .L_ZN12_GLOBAL__N_17runRingIa7FuncSumIaE11ProtoSimpleILi1ELi1ELi0ELi4ELi0ELi0EELi0ELi4ELi0EEEviiP15ncclDevWorkColl.uses_vcc, or(1, .L__assert_fail.uses_vcc)
	.set .L_ZN12_GLOBAL__N_17runRingIa7FuncSumIaE11ProtoSimpleILi1ELi1ELi0ELi4ELi0ELi0EELi0ELi4ELi0EEEviiP15ncclDevWorkColl.uses_flat_scratch, or(1, .L__assert_fail.uses_flat_scratch)
	.set .L_ZN12_GLOBAL__N_17runRingIa7FuncSumIaE11ProtoSimpleILi1ELi1ELi0ELi4ELi0ELi0EELi0ELi4ELi0EEEviiP15ncclDevWorkColl.has_dyn_sized_stack, or(0, .L__assert_fail.has_dyn_sized_stack)
	.set .L_ZN12_GLOBAL__N_17runRingIa7FuncSumIaE11ProtoSimpleILi1ELi1ELi0ELi4ELi0ELi0EELi0ELi4ELi0EEEviiP15ncclDevWorkColl.has_recursion, or(1, .L__assert_fail.has_recursion)
	.set .L_ZN12_GLOBAL__N_17runRingIa7FuncSumIaE11ProtoSimpleILi1ELi1ELi0ELi4ELi0ELi0EELi0ELi4ELi0EEEviiP15ncclDevWorkColl.has_indirect_call, or(0, .L__assert_fail.has_indirect_call)
	.section	.AMDGPU.csdata,"",@progbits
; Function info:
; codeLenInByte = 41400
; TotalNumSgprs: 63
; NumVgprs: 120
; ScratchSize: 224
; MemoryBound: 1
	.text
	.p2align	2                               ; -- Begin function _Z46ncclDevFunc_Broadcast_RING_SIMPLE_Sum_i8_0_0_4v
	.type	_Z46ncclDevFunc_Broadcast_RING_SIMPLE_Sum_i8_0_0_4v,@function
_Z46ncclDevFunc_Broadcast_RING_SIMPLE_Sum_i8_0_0_4v: ; @_Z46ncclDevFunc_Broadcast_RING_SIMPLE_Sum_i8_0_0_4v
; %bb.0:
	s_wait_loadcnt_dscnt 0x0
	s_wait_kmcnt 0x0
	s_mov_b32 s76, s33
	s_mov_b32 s33, s32
	s_or_saveexec_b32 s0, -1
	scratch_store_b32 off, v42, s33 offset:12 ; 4-byte Folded Spill
	s_wait_xcnt 0x0
	s_mov_b32 exec_lo, s0
	s_add_co_i32 s32, s32, 32
	s_clause 0x2
	scratch_store_b32 off, v40, s33 offset:8
	; meta instruction
	scratch_store_b32 off, v41, s33 offset:4
	; meta instruction
	scratch_store_b32 off, v107, s33
	v_writelane_b32 v42, s30, 0
	v_writelane_b32 v42, s31, 1
	s_trap 2
	ds_load_b32 v0, v0
	s_wait_xcnt 0x2
	v_mov_b32_e32 v40, v31
	s_wait_dscnt 0x0
	v_cmp_gt_i32_e32 vcc_lo, 1, v0
	s_cbranch_vccnz .LBB13_8
; %bb.1:
	s_wait_xcnt 0x1
	v_and_b32_e32 v41, 0x3ff, v40
	s_mov_b32 s61, s12
	s_mov_b64 s[62:63], s[8:9]
	s_mov_b32 s74, 0
	s_get_pc_i64 s[72:73]
	s_add_nc_u64 s[72:73], s[72:73], _ZN12_GLOBAL__N_17runRingIa7FuncSumIaE11ProtoSimpleILi1ELi1ELi0ELi4ELi0ELi0EELi0ELi4ELi0EEEviiP15ncclDevWorkColl@rel64+4
	s_branch .LBB13_3
.LBB13_2:                               ;   in Loop: Header=BB13_3 Depth=1
	s_or_b32 exec_lo, exec_lo, s75
	s_trap 2
	ds_load_b32 v0, v0
	s_add_co_i32 s74, s74, 1
	s_wait_dscnt 0x0
	v_cmp_lt_i32_e32 vcc_lo, s74, v0
	s_cbranch_vccz .LBB13_8
.LBB13_3:                               ; =>This Inner Loop Header: Depth=1
	s_trap 2
	ds_load_b32 v0, v0
	s_cmp_eq_u32 s74, 0
	s_cbranch_scc1 .LBB13_6
; %bb.4:                                ;   in Loop: Header=BB13_3 Depth=1
	s_trap 2
	s_wait_dscnt 0x0
	ds_load_b32 v1, v0
	s_wait_dscnt 0x0
	v_xor_b32_e32 v1, v1, v0
	s_delay_alu instid0(VALU_DEP_1) | instskip(NEXT) | instid1(VALU_DEP_1)
	v_and_b32_e32 v1, 0xff0000, v1
	v_cmp_eq_u32_e32 vcc_lo, 0, v1
	s_cbranch_vccnz .LBB13_6
; %bb.5:                                ;   in Loop: Header=BB13_3 Depth=1
	s_wait_storecnt 0x0
	s_barrier_signal -1
	s_barrier_wait -1
	ds_load_b32 v0, v0
.LBB13_6:                               ;   in Loop: Header=BB13_3 Depth=1
	s_wait_dscnt 0x0
	v_lshrrev_b32_e32 v0, 11, v0
	s_mov_b32 s75, exec_lo
	s_delay_alu instid0(VALU_DEP_1) | instskip(SKIP_1) | instid1(VALU_DEP_1)
	v_and_b32_e32 v1, 0x1fe0, v0
	s_wait_xcnt 0x0
	v_cmpx_lt_u32_e64 v41, v1
	s_cbranch_execz .LBB13_2
; %bb.7:                                ;   in Loop: Header=BB13_3 Depth=1
	s_mov_b64 s[0:1], src_shared_base
	v_dual_mov_b32 v31, v40 :: v_dual_mov_b32 v0, v41
	v_mov_b32_e32 v3, s1
	s_mov_b64 s[8:9], s[62:63]
	s_mov_b32 s12, s61
	s_swap_pc_i64 s[30:31], s[72:73]
	s_branch .LBB13_2
.LBB13_8:
	s_clause 0x2
	scratch_load_b32 v107, off, s33
	scratch_load_b32 v41, off, s33 offset:4
	scratch_load_b32 v40, off, s33 offset:8
	v_readlane_b32 s30, v42, 0
	v_readlane_b32 s31, v42, 1
	s_mov_b32 s32, s33
	s_wait_xcnt 0x0
	s_or_saveexec_b32 s0, -1
	scratch_load_b32 v42, off, s33 offset:12 ; 4-byte Folded Reload
	s_wait_xcnt 0x0
	s_mov_b32 exec_lo, s0
	s_mov_b32 s33, s76
	s_wait_loadcnt 0x0
	s_set_pc_i64 s[30:31]
.Lfunc_end13:
	.size	_Z46ncclDevFunc_Broadcast_RING_SIMPLE_Sum_i8_0_0_4v, .Lfunc_end13-_Z46ncclDevFunc_Broadcast_RING_SIMPLE_Sum_i8_0_0_4v
                                        ; -- End function
	.set .L_Z46ncclDevFunc_Broadcast_RING_SIMPLE_Sum_i8_0_0_4v.num_vgpr, max(108, .L_ZN12_GLOBAL__N_17runRingIa7FuncSumIaE11ProtoSimpleILi1ELi1ELi0ELi4ELi0ELi0EELi0ELi4ELi0EEEviiP15ncclDevWorkColl.num_vgpr)
	.set .L_Z46ncclDevFunc_Broadcast_RING_SIMPLE_Sum_i8_0_0_4v.num_agpr, max(0, .L_ZN12_GLOBAL__N_17runRingIa7FuncSumIaE11ProtoSimpleILi1ELi1ELi0ELi4ELi0ELi0EELi0ELi4ELi0EEEviiP15ncclDevWorkColl.num_agpr)
	.set .L_Z46ncclDevFunc_Broadcast_RING_SIMPLE_Sum_i8_0_0_4v.numbered_sgpr, max(77, .L_ZN12_GLOBAL__N_17runRingIa7FuncSumIaE11ProtoSimpleILi1ELi1ELi0ELi4ELi0ELi0EELi0ELi4ELi0EEEviiP15ncclDevWorkColl.numbered_sgpr)
	.set .L_Z46ncclDevFunc_Broadcast_RING_SIMPLE_Sum_i8_0_0_4v.num_named_barrier, max(0, .L_ZN12_GLOBAL__N_17runRingIa7FuncSumIaE11ProtoSimpleILi1ELi1ELi0ELi4ELi0ELi0EELi0ELi4ELi0EEEviiP15ncclDevWorkColl.num_named_barrier)
	.set .L_Z46ncclDevFunc_Broadcast_RING_SIMPLE_Sum_i8_0_0_4v.private_seg_size, 32+max(.L_ZN12_GLOBAL__N_17runRingIa7FuncSumIaE11ProtoSimpleILi1ELi1ELi0ELi4ELi0ELi0EELi0ELi4ELi0EEEviiP15ncclDevWorkColl.private_seg_size)
	.set .L_Z46ncclDevFunc_Broadcast_RING_SIMPLE_Sum_i8_0_0_4v.uses_vcc, or(1, .L_ZN12_GLOBAL__N_17runRingIa7FuncSumIaE11ProtoSimpleILi1ELi1ELi0ELi4ELi0ELi0EELi0ELi4ELi0EEEviiP15ncclDevWorkColl.uses_vcc)
	.set .L_Z46ncclDevFunc_Broadcast_RING_SIMPLE_Sum_i8_0_0_4v.uses_flat_scratch, or(1, .L_ZN12_GLOBAL__N_17runRingIa7FuncSumIaE11ProtoSimpleILi1ELi1ELi0ELi4ELi0ELi0EELi0ELi4ELi0EEEviiP15ncclDevWorkColl.uses_flat_scratch)
	.set .L_Z46ncclDevFunc_Broadcast_RING_SIMPLE_Sum_i8_0_0_4v.has_dyn_sized_stack, or(0, .L_ZN12_GLOBAL__N_17runRingIa7FuncSumIaE11ProtoSimpleILi1ELi1ELi0ELi4ELi0ELi0EELi0ELi4ELi0EEEviiP15ncclDevWorkColl.has_dyn_sized_stack)
	.set .L_Z46ncclDevFunc_Broadcast_RING_SIMPLE_Sum_i8_0_0_4v.has_recursion, or(1, .L_ZN12_GLOBAL__N_17runRingIa7FuncSumIaE11ProtoSimpleILi1ELi1ELi0ELi4ELi0ELi0EELi0ELi4ELi0EEEviiP15ncclDevWorkColl.has_recursion)
	.set .L_Z46ncclDevFunc_Broadcast_RING_SIMPLE_Sum_i8_0_0_4v.has_indirect_call, or(0, .L_ZN12_GLOBAL__N_17runRingIa7FuncSumIaE11ProtoSimpleILi1ELi1ELi0ELi4ELi0ELi0EELi0ELi4ELi0EEEviiP15ncclDevWorkColl.has_indirect_call)
	.section	.AMDGPU.csdata,"",@progbits
; Function info:
; codeLenInByte = 464
; TotalNumSgprs: 79
; NumVgprs: 120
; ScratchSize: 256
; MemoryBound: 0
	.text
	.p2alignl 7, 3214868480
	.fill 96, 4, 3214868480
	.section	.AMDGPU.gpr_maximums,"",@progbits
	.set amdgpu.max_num_vgpr, 120
	.set amdgpu.max_num_agpr, 0
	.set amdgpu.max_num_sgpr, 77
	.text
	.type	__const.__assert_fail.fmt,@object ; @__const.__assert_fail.fmt
	.section	.rodata.str1.16,"aMS",@progbits,1
	.p2align	4, 0x0
__const.__assert_fail.fmt:
	.asciz	"%s:%u: %s: Device-side assertion `%s' failed.\n"
	.size	__const.__assert_fail.fmt, 47

	.type	.str.4,@object                  ; @.str.4
	.section	.rodata.str1.1,"aMS",@progbits,1
.str.4:
	.asciz	"2*(nrecv+nsend) <= nthreads"
	.size	.str.4, 28

	.type	.str.5,@object                  ; @.str.5
.str.5:
	.asciz	"/root/src/amdgpu-assembly/repos/ROCm__rccl/hipify/src/device/prims_simple.h"
	.size	.str.5, 76

	.type	__PRETTY_FUNCTION__._ZN10PrimitivesIa7FuncSumIaE12FanSymmetricILi1EELi0E11ProtoSimpleILi1ELi1ELi0ELi1ELi0ELi0EELi0ELb0ELi0ELi0ELi0EEC2EiiPKiS8_PKvPvmhhhP15ncclDevWorkCollP14ncclDevWorkP2pii,@object ; @__PRETTY_FUNCTION__._ZN10PrimitivesIa7FuncSumIaE12FanSymmetricILi1EELi0E11ProtoSimpleILi1ELi1ELi0ELi1ELi0ELi0EELi0ELb0ELi0ELi0ELi0EEC2EiiPKiS8_PKvPvmhhhP15ncclDevWorkCollP14ncclDevWorkP2pii
__PRETTY_FUNCTION__._ZN10PrimitivesIa7FuncSumIaE12FanSymmetricILi1EELi0E11ProtoSimpleILi1ELi1ELi0ELi1ELi0ELi0EELi0ELb0ELi0ELi0ELi0EEC2EiiPKiS8_PKvPvmhhhP15ncclDevWorkCollP14ncclDevWorkP2pii:
	.asciz	"Primitives<signed char, FuncSum<signed char>, FanSymmetric<1>, 0, ProtoSimple<1, 1, 0, 1>, 0>::Primitives(int, int, const int *, const int *, const void *, void *, uint64_t, uint8_t, uint8_t, uint8_t, struct ncclDevWorkColl *, struct ncclDevWorkP2p *, int, int) [T = signed char, RedOp = FuncSum<signed char>, Fan = FanSymmetric<1>, Direct = 0, Proto = ProtoSimple<1, 1, 0, 1>, P2p = 0, isNetOffload = false, Metadata = 0, Pipeline = 0, useAcc = 0]"
	.size	__PRETTY_FUNCTION__._ZN10PrimitivesIa7FuncSumIaE12FanSymmetricILi1EELi0E11ProtoSimpleILi1ELi1ELi0ELi1ELi0ELi0EELi0ELb0ELi0ELi0ELi0EEC2EiiPKiS8_PKvPvmhhhP15ncclDevWorkCollP14ncclDevWorkP2pii, 449

	.type	__PRETTY_FUNCTION__._ZN10PrimitivesIa7FuncSumIaE12FanSymmetricILi1EELi0E11ProtoSimpleILi1ELi1ELi0ELi2ELi0ELi0EELi0ELb0ELi0ELi0ELi0EEC2EiiPKiS8_PKvPvmhhhP15ncclDevWorkCollP14ncclDevWorkP2pii,@object ; @__PRETTY_FUNCTION__._ZN10PrimitivesIa7FuncSumIaE12FanSymmetricILi1EELi0E11ProtoSimpleILi1ELi1ELi0ELi2ELi0ELi0EELi0ELb0ELi0ELi0ELi0EEC2EiiPKiS8_PKvPvmhhhP15ncclDevWorkCollP14ncclDevWorkP2pii
__PRETTY_FUNCTION__._ZN10PrimitivesIa7FuncSumIaE12FanSymmetricILi1EELi0E11ProtoSimpleILi1ELi1ELi0ELi2ELi0ELi0EELi0ELb0ELi0ELi0ELi0EEC2EiiPKiS8_PKvPvmhhhP15ncclDevWorkCollP14ncclDevWorkP2pii:
	.asciz	"Primitives<signed char, FuncSum<signed char>, FanSymmetric<1>, 0, ProtoSimple<1, 1, 0, 2>, 0>::Primitives(int, int, const int *, const int *, const void *, void *, uint64_t, uint8_t, uint8_t, uint8_t, struct ncclDevWorkColl *, struct ncclDevWorkP2p *, int, int) [T = signed char, RedOp = FuncSum<signed char>, Fan = FanSymmetric<1>, Direct = 0, Proto = ProtoSimple<1, 1, 0, 2>, P2p = 0, isNetOffload = false, Metadata = 0, Pipeline = 0, useAcc = 0]"
	.size	__PRETTY_FUNCTION__._ZN10PrimitivesIa7FuncSumIaE12FanSymmetricILi1EELi0E11ProtoSimpleILi1ELi1ELi0ELi2ELi0ELi0EELi0ELb0ELi0ELi0ELi0EEC2EiiPKiS8_PKvPvmhhhP15ncclDevWorkCollP14ncclDevWorkP2pii, 449

	.type	__PRETTY_FUNCTION__._ZN10PrimitivesIa7FuncSumIaE12FanSymmetricILi1EELi0E11ProtoSimpleILi1ELi1ELi0ELi4ELi0ELi0EELi0ELb0ELi0ELi0ELi0EEC2EiiPKiS8_PKvPvmhhhP15ncclDevWorkCollP14ncclDevWorkP2pii,@object ; @__PRETTY_FUNCTION__._ZN10PrimitivesIa7FuncSumIaE12FanSymmetricILi1EELi0E11ProtoSimpleILi1ELi1ELi0ELi4ELi0ELi0EELi0ELb0ELi0ELi0ELi0EEC2EiiPKiS8_PKvPvmhhhP15ncclDevWorkCollP14ncclDevWorkP2pii
__PRETTY_FUNCTION__._ZN10PrimitivesIa7FuncSumIaE12FanSymmetricILi1EELi0E11ProtoSimpleILi1ELi1ELi0ELi4ELi0ELi0EELi0ELb0ELi0ELi0ELi0EEC2EiiPKiS8_PKvPvmhhhP15ncclDevWorkCollP14ncclDevWorkP2pii:
	.asciz	"Primitives<signed char, FuncSum<signed char>, FanSymmetric<1>, 0, ProtoSimple<1, 1, 0, 4>, 0>::Primitives(int, int, const int *, const int *, const void *, void *, uint64_t, uint8_t, uint8_t, uint8_t, struct ncclDevWorkColl *, struct ncclDevWorkP2p *, int, int) [T = signed char, RedOp = FuncSum<signed char>, Fan = FanSymmetric<1>, Direct = 0, Proto = ProtoSimple<1, 1, 0, 4>, P2p = 0, isNetOffload = false, Metadata = 0, Pipeline = 0, useAcc = 0]"
	.size	__PRETTY_FUNCTION__._ZN10PrimitivesIa7FuncSumIaE12FanSymmetricILi1EELi0E11ProtoSimpleILi1ELi1ELi0ELi4ELi0ELi0EELi0ELb0ELi0ELi0ELi0EEC2EiiPKiS8_PKvPvmhhhP15ncclDevWorkCollP14ncclDevWorkP2pii, 449

	.type	__hip_cuid_1935aee35f7f2a27,@object ; @__hip_cuid_1935aee35f7f2a27
	.section	.bss,"aw",@nobits
	.globl	__hip_cuid_1935aee35f7f2a27
__hip_cuid_1935aee35f7f2a27:
	.byte	0                               ; 0x0
	.size	__hip_cuid_1935aee35f7f2a27, 1

	.ident	"AMD clang version 22.0.0git (https://github.com/RadeonOpenCompute/llvm-project roc-7.2.4 26084 f58b06dce1f9c15707c5f808fd002e18c2accf7e)"
	.section	".note.GNU-stack","",@progbits
	.addrsig
	.addrsig_sym _Z42ncclDevFunc_Broadcast_RING_LL_Sum_i8_0_0_1v
	.addrsig_sym _Z46ncclDevFunc_Broadcast_RING_SIMPLE_Sum_i8_0_0_1v
	.addrsig_sym _Z42ncclDevFunc_Broadcast_RING_LL_Sum_i8_0_0_2v
	.addrsig_sym _Z46ncclDevFunc_Broadcast_RING_SIMPLE_Sum_i8_0_0_2v
	.addrsig_sym _Z42ncclDevFunc_Broadcast_RING_LL_Sum_i8_0_0_4v
	.addrsig_sym _Z46ncclDevFunc_Broadcast_RING_SIMPLE_Sum_i8_0_0_4v
	.addrsig_sym ncclShmem
	.addrsig_sym __hip_cuid_1935aee35f7f2a27
	.amdgpu_metadata
---
amdhsa.kernels:  []
amdhsa.target:   amdgcn-amd-amdhsa--gfx1250
amdhsa.version:
  - 1
  - 2
...

	.end_amdgpu_metadata
